;; amdgpu-corpus repo=ROCm/rocFFT kind=compiled arch=gfx1201 opt=O3
	.text
	.amdgcn_target "amdgcn-amd-amdhsa--gfx1201"
	.amdhsa_code_object_version 6
	.protected	fft_rtc_back_len1375_factors_11_5_5_5_wgs_55_tpt_55_halfLds_sp_ip_CI_unitstride_sbrr_dirReg ; -- Begin function fft_rtc_back_len1375_factors_11_5_5_5_wgs_55_tpt_55_halfLds_sp_ip_CI_unitstride_sbrr_dirReg
	.globl	fft_rtc_back_len1375_factors_11_5_5_5_wgs_55_tpt_55_halfLds_sp_ip_CI_unitstride_sbrr_dirReg
	.p2align	8
	.type	fft_rtc_back_len1375_factors_11_5_5_5_wgs_55_tpt_55_halfLds_sp_ip_CI_unitstride_sbrr_dirReg,@function
fft_rtc_back_len1375_factors_11_5_5_5_wgs_55_tpt_55_halfLds_sp_ip_CI_unitstride_sbrr_dirReg: ; @fft_rtc_back_len1375_factors_11_5_5_5_wgs_55_tpt_55_halfLds_sp_ip_CI_unitstride_sbrr_dirReg
; %bb.0:
	s_clause 0x2
	s_load_b128 s[4:7], s[0:1], 0x0
	s_load_b64 s[8:9], s[0:1], 0x50
	s_load_b64 s[10:11], s[0:1], 0x18
	v_mul_u32_u24_e32 v1, 0x4a8, v0
	v_mov_b32_e32 v3, 0
	s_delay_alu instid0(VALU_DEP_2) | instskip(NEXT) | instid1(VALU_DEP_1)
	v_lshrrev_b32_e32 v1, 16, v1
	v_add_nc_u32_e32 v5, ttmp9, v1
	v_mov_b32_e32 v1, 0
	v_mov_b32_e32 v2, 0
	;; [unrolled: 1-line block ×3, first 2 shown]
	s_wait_kmcnt 0x0
	v_cmp_lt_u64_e64 s2, s[6:7], 2
	s_delay_alu instid0(VALU_DEP_1)
	s_and_b32 vcc_lo, exec_lo, s2
	s_cbranch_vccnz .LBB0_8
; %bb.1:
	s_load_b64 s[2:3], s[0:1], 0x10
	v_mov_b32_e32 v1, 0
	v_mov_b32_e32 v2, 0
	s_add_nc_u64 s[12:13], s[10:11], 8
	s_mov_b64 s[14:15], 1
	s_wait_kmcnt 0x0
	s_add_nc_u64 s[16:17], s[2:3], 8
	s_mov_b32 s3, 0
.LBB0_2:                                ; =>This Inner Loop Header: Depth=1
	s_load_b64 s[18:19], s[16:17], 0x0
                                        ; implicit-def: $vgpr7_vgpr8
	s_mov_b32 s2, exec_lo
	s_wait_kmcnt 0x0
	v_or_b32_e32 v4, s19, v6
	s_delay_alu instid0(VALU_DEP_1)
	v_cmpx_ne_u64_e32 0, v[3:4]
	s_wait_alu 0xfffe
	s_xor_b32 s20, exec_lo, s2
	s_cbranch_execz .LBB0_4
; %bb.3:                                ;   in Loop: Header=BB0_2 Depth=1
	s_cvt_f32_u32 s2, s18
	s_cvt_f32_u32 s21, s19
	s_sub_nc_u64 s[24:25], 0, s[18:19]
	s_wait_alu 0xfffe
	s_delay_alu instid0(SALU_CYCLE_1) | instskip(SKIP_1) | instid1(SALU_CYCLE_2)
	s_fmamk_f32 s2, s21, 0x4f800000, s2
	s_wait_alu 0xfffe
	v_s_rcp_f32 s2, s2
	s_delay_alu instid0(TRANS32_DEP_1) | instskip(SKIP_1) | instid1(SALU_CYCLE_2)
	s_mul_f32 s2, s2, 0x5f7ffffc
	s_wait_alu 0xfffe
	s_mul_f32 s21, s2, 0x2f800000
	s_wait_alu 0xfffe
	s_delay_alu instid0(SALU_CYCLE_2) | instskip(SKIP_1) | instid1(SALU_CYCLE_2)
	s_trunc_f32 s21, s21
	s_wait_alu 0xfffe
	s_fmamk_f32 s2, s21, 0xcf800000, s2
	s_cvt_u32_f32 s23, s21
	s_wait_alu 0xfffe
	s_delay_alu instid0(SALU_CYCLE_1) | instskip(SKIP_1) | instid1(SALU_CYCLE_2)
	s_cvt_u32_f32 s22, s2
	s_wait_alu 0xfffe
	s_mul_u64 s[26:27], s[24:25], s[22:23]
	s_wait_alu 0xfffe
	s_mul_hi_u32 s29, s22, s27
	s_mul_i32 s28, s22, s27
	s_mul_hi_u32 s2, s22, s26
	s_mul_i32 s30, s23, s26
	s_wait_alu 0xfffe
	s_add_nc_u64 s[28:29], s[2:3], s[28:29]
	s_mul_hi_u32 s21, s23, s26
	s_mul_hi_u32 s31, s23, s27
	s_add_co_u32 s2, s28, s30
	s_wait_alu 0xfffe
	s_add_co_ci_u32 s2, s29, s21
	s_mul_i32 s26, s23, s27
	s_add_co_ci_u32 s27, s31, 0
	s_wait_alu 0xfffe
	s_add_nc_u64 s[26:27], s[2:3], s[26:27]
	s_wait_alu 0xfffe
	v_add_co_u32 v4, s2, s22, s26
	s_delay_alu instid0(VALU_DEP_1) | instskip(SKIP_1) | instid1(VALU_DEP_1)
	s_cmp_lg_u32 s2, 0
	s_add_co_ci_u32 s23, s23, s27
	v_readfirstlane_b32 s22, v4
	s_wait_alu 0xfffe
	s_delay_alu instid0(VALU_DEP_1)
	s_mul_u64 s[24:25], s[24:25], s[22:23]
	s_wait_alu 0xfffe
	s_mul_hi_u32 s27, s22, s25
	s_mul_i32 s26, s22, s25
	s_mul_hi_u32 s2, s22, s24
	s_mul_i32 s28, s23, s24
	s_wait_alu 0xfffe
	s_add_nc_u64 s[26:27], s[2:3], s[26:27]
	s_mul_hi_u32 s21, s23, s24
	s_mul_hi_u32 s22, s23, s25
	s_wait_alu 0xfffe
	s_add_co_u32 s2, s26, s28
	s_add_co_ci_u32 s2, s27, s21
	s_mul_i32 s24, s23, s25
	s_add_co_ci_u32 s25, s22, 0
	s_wait_alu 0xfffe
	s_add_nc_u64 s[24:25], s[2:3], s[24:25]
	s_wait_alu 0xfffe
	v_add_co_u32 v4, s2, v4, s24
	s_delay_alu instid0(VALU_DEP_1) | instskip(SKIP_1) | instid1(VALU_DEP_1)
	s_cmp_lg_u32 s2, 0
	s_add_co_ci_u32 s2, s23, s25
	v_mul_hi_u32 v13, v5, v4
	s_wait_alu 0xfffe
	v_mad_co_u64_u32 v[7:8], null, v5, s2, 0
	v_mad_co_u64_u32 v[9:10], null, v6, v4, 0
	;; [unrolled: 1-line block ×3, first 2 shown]
	s_delay_alu instid0(VALU_DEP_3) | instskip(SKIP_1) | instid1(VALU_DEP_4)
	v_add_co_u32 v4, vcc_lo, v13, v7
	s_wait_alu 0xfffd
	v_add_co_ci_u32_e32 v7, vcc_lo, 0, v8, vcc_lo
	s_delay_alu instid0(VALU_DEP_2) | instskip(SKIP_1) | instid1(VALU_DEP_2)
	v_add_co_u32 v4, vcc_lo, v4, v9
	s_wait_alu 0xfffd
	v_add_co_ci_u32_e32 v4, vcc_lo, v7, v10, vcc_lo
	s_wait_alu 0xfffd
	v_add_co_ci_u32_e32 v7, vcc_lo, 0, v12, vcc_lo
	s_delay_alu instid0(VALU_DEP_2) | instskip(SKIP_1) | instid1(VALU_DEP_2)
	v_add_co_u32 v4, vcc_lo, v4, v11
	s_wait_alu 0xfffd
	v_add_co_ci_u32_e32 v9, vcc_lo, 0, v7, vcc_lo
	s_delay_alu instid0(VALU_DEP_2) | instskip(SKIP_1) | instid1(VALU_DEP_3)
	v_mul_lo_u32 v10, s19, v4
	v_mad_co_u64_u32 v[7:8], null, s18, v4, 0
	v_mul_lo_u32 v11, s18, v9
	s_delay_alu instid0(VALU_DEP_2) | instskip(NEXT) | instid1(VALU_DEP_2)
	v_sub_co_u32 v7, vcc_lo, v5, v7
	v_add3_u32 v8, v8, v11, v10
	s_delay_alu instid0(VALU_DEP_1) | instskip(SKIP_1) | instid1(VALU_DEP_1)
	v_sub_nc_u32_e32 v10, v6, v8
	s_wait_alu 0xfffd
	v_subrev_co_ci_u32_e64 v10, s2, s19, v10, vcc_lo
	v_add_co_u32 v11, s2, v4, 2
	s_wait_alu 0xf1ff
	v_add_co_ci_u32_e64 v12, s2, 0, v9, s2
	v_sub_co_u32 v13, s2, v7, s18
	v_sub_co_ci_u32_e32 v8, vcc_lo, v6, v8, vcc_lo
	s_wait_alu 0xf1ff
	v_subrev_co_ci_u32_e64 v10, s2, 0, v10, s2
	s_delay_alu instid0(VALU_DEP_3) | instskip(NEXT) | instid1(VALU_DEP_3)
	v_cmp_le_u32_e32 vcc_lo, s18, v13
	v_cmp_eq_u32_e64 s2, s19, v8
	s_wait_alu 0xfffd
	v_cndmask_b32_e64 v13, 0, -1, vcc_lo
	v_cmp_le_u32_e32 vcc_lo, s19, v10
	s_wait_alu 0xfffd
	v_cndmask_b32_e64 v14, 0, -1, vcc_lo
	v_cmp_le_u32_e32 vcc_lo, s18, v7
	;; [unrolled: 3-line block ×3, first 2 shown]
	s_wait_alu 0xfffd
	v_cndmask_b32_e64 v15, 0, -1, vcc_lo
	v_cmp_eq_u32_e32 vcc_lo, s19, v10
	s_wait_alu 0xf1ff
	s_delay_alu instid0(VALU_DEP_2)
	v_cndmask_b32_e64 v7, v15, v7, s2
	s_wait_alu 0xfffd
	v_cndmask_b32_e32 v10, v14, v13, vcc_lo
	v_add_co_u32 v13, vcc_lo, v4, 1
	s_wait_alu 0xfffd
	v_add_co_ci_u32_e32 v14, vcc_lo, 0, v9, vcc_lo
	s_delay_alu instid0(VALU_DEP_3) | instskip(SKIP_2) | instid1(VALU_DEP_3)
	v_cmp_ne_u32_e32 vcc_lo, 0, v10
	s_wait_alu 0xfffd
	v_cndmask_b32_e32 v10, v13, v11, vcc_lo
	v_cndmask_b32_e32 v8, v14, v12, vcc_lo
	v_cmp_ne_u32_e32 vcc_lo, 0, v7
	s_wait_alu 0xfffd
	s_delay_alu instid0(VALU_DEP_2)
	v_dual_cndmask_b32 v7, v4, v10 :: v_dual_cndmask_b32 v8, v9, v8
.LBB0_4:                                ;   in Loop: Header=BB0_2 Depth=1
	s_wait_alu 0xfffe
	s_and_not1_saveexec_b32 s2, s20
	s_cbranch_execz .LBB0_6
; %bb.5:                                ;   in Loop: Header=BB0_2 Depth=1
	v_cvt_f32_u32_e32 v4, s18
	s_sub_co_i32 s20, 0, s18
	s_delay_alu instid0(VALU_DEP_1) | instskip(NEXT) | instid1(TRANS32_DEP_1)
	v_rcp_iflag_f32_e32 v4, v4
	v_mul_f32_e32 v4, 0x4f7ffffe, v4
	s_delay_alu instid0(VALU_DEP_1) | instskip(SKIP_1) | instid1(VALU_DEP_1)
	v_cvt_u32_f32_e32 v4, v4
	s_wait_alu 0xfffe
	v_mul_lo_u32 v7, s20, v4
	s_delay_alu instid0(VALU_DEP_1) | instskip(NEXT) | instid1(VALU_DEP_1)
	v_mul_hi_u32 v7, v4, v7
	v_add_nc_u32_e32 v4, v4, v7
	s_delay_alu instid0(VALU_DEP_1) | instskip(NEXT) | instid1(VALU_DEP_1)
	v_mul_hi_u32 v4, v5, v4
	v_mul_lo_u32 v7, v4, s18
	v_add_nc_u32_e32 v8, 1, v4
	s_delay_alu instid0(VALU_DEP_2) | instskip(NEXT) | instid1(VALU_DEP_1)
	v_sub_nc_u32_e32 v7, v5, v7
	v_subrev_nc_u32_e32 v9, s18, v7
	v_cmp_le_u32_e32 vcc_lo, s18, v7
	s_wait_alu 0xfffd
	s_delay_alu instid0(VALU_DEP_2) | instskip(NEXT) | instid1(VALU_DEP_1)
	v_dual_cndmask_b32 v7, v7, v9 :: v_dual_cndmask_b32 v4, v4, v8
	v_cmp_le_u32_e32 vcc_lo, s18, v7
	s_delay_alu instid0(VALU_DEP_2) | instskip(SKIP_1) | instid1(VALU_DEP_1)
	v_add_nc_u32_e32 v8, 1, v4
	s_wait_alu 0xfffd
	v_dual_cndmask_b32 v7, v4, v8 :: v_dual_mov_b32 v8, v3
.LBB0_6:                                ;   in Loop: Header=BB0_2 Depth=1
	s_wait_alu 0xfffe
	s_or_b32 exec_lo, exec_lo, s2
	s_load_b64 s[20:21], s[12:13], 0x0
	s_delay_alu instid0(VALU_DEP_1)
	v_mul_lo_u32 v4, v8, s18
	v_mul_lo_u32 v11, v7, s19
	v_mad_co_u64_u32 v[9:10], null, v7, s18, 0
	s_add_nc_u64 s[14:15], s[14:15], 1
	s_add_nc_u64 s[12:13], s[12:13], 8
	s_wait_alu 0xfffe
	v_cmp_ge_u64_e64 s2, s[14:15], s[6:7]
	s_add_nc_u64 s[16:17], s[16:17], 8
	s_delay_alu instid0(VALU_DEP_2) | instskip(NEXT) | instid1(VALU_DEP_3)
	v_add3_u32 v4, v10, v11, v4
	v_sub_co_u32 v5, vcc_lo, v5, v9
	s_wait_alu 0xfffd
	s_delay_alu instid0(VALU_DEP_2) | instskip(SKIP_3) | instid1(VALU_DEP_2)
	v_sub_co_ci_u32_e32 v4, vcc_lo, v6, v4, vcc_lo
	s_and_b32 vcc_lo, exec_lo, s2
	s_wait_kmcnt 0x0
	v_mul_lo_u32 v6, s21, v5
	v_mul_lo_u32 v4, s20, v4
	v_mad_co_u64_u32 v[1:2], null, s20, v5, v[1:2]
	s_delay_alu instid0(VALU_DEP_1)
	v_add3_u32 v2, v6, v2, v4
	s_wait_alu 0xfffe
	s_cbranch_vccnz .LBB0_9
; %bb.7:                                ;   in Loop: Header=BB0_2 Depth=1
	v_dual_mov_b32 v5, v7 :: v_dual_mov_b32 v6, v8
	s_branch .LBB0_2
.LBB0_8:
	v_dual_mov_b32 v8, v6 :: v_dual_mov_b32 v7, v5
.LBB0_9:
	s_lshl_b64 s[2:3], s[6:7], 3
	v_mul_hi_u32 v5, 0x4a7904b, v0
	s_wait_alu 0xfffe
	s_add_nc_u64 s[2:3], s[10:11], s[2:3]
	v_mov_b32_e32 v13, 0
	s_load_b64 s[2:3], s[2:3], 0x0
	s_load_b64 s[0:1], s[0:1], 0x20
                                        ; implicit-def: $vgpr59
                                        ; implicit-def: $vgpr69
                                        ; implicit-def: $vgpr63
                                        ; implicit-def: $vgpr55
                                        ; implicit-def: $vgpr53
                                        ; implicit-def: $vgpr49
                                        ; implicit-def: $vgpr37
                                        ; implicit-def: $vgpr45
                                        ; implicit-def: $vgpr41
                                        ; implicit-def: $vgpr35
                                        ; implicit-def: $vgpr31
                                        ; implicit-def: $vgpr27
                                        ; implicit-def: $vgpr25
                                        ; implicit-def: $vgpr23
                                        ; implicit-def: $vgpr15
                                        ; implicit-def: $vgpr19
                                        ; implicit-def: $vgpr21
                                        ; implicit-def: $vgpr17
                                        ; implicit-def: $vgpr11
                                        ; implicit-def: $vgpr47
                                        ; implicit-def: $vgpr43
                                        ; implicit-def: $vgpr39
                                        ; implicit-def: $vgpr33
                                        ; implicit-def: $vgpr29
                                        ; implicit-def: $vgpr65
                                        ; implicit-def: $vgpr67
                                        ; implicit-def: $vgpr61
                                        ; implicit-def: $vgpr57
                                        ; implicit-def: $vgpr51
	s_wait_kmcnt 0x0
	v_mul_lo_u32 v6, s2, v8
	v_mul_lo_u32 v9, s3, v7
	v_mad_co_u64_u32 v[3:4], null, s2, v7, v[1:2]
	v_mul_u32_u24_e32 v1, 55, v5
	v_cmp_gt_u64_e32 vcc_lo, s[0:1], v[7:8]
                                        ; implicit-def: $vgpr5
                                        ; implicit-def: $vgpr7
	s_delay_alu instid0(VALU_DEP_2) | instskip(NEXT) | instid1(VALU_DEP_4)
	v_sub_nc_u32_e32 v2, v0, v1
	v_add3_u32 v4, v9, v4, v6
                                        ; implicit-def: $vgpr9
	s_delay_alu instid0(VALU_DEP_1)
	v_lshlrev_b64_e32 v[0:1], 3, v[3:4]
	v_mov_b32_e32 v3, 0
	s_and_saveexec_b32 s1, vcc_lo
	s_cbranch_execz .LBB0_13
; %bb.10:
	v_mov_b32_e32 v3, 0
	s_delay_alu instid0(VALU_DEP_3) | instskip(SKIP_2) | instid1(VALU_DEP_3)
	v_add_co_u32 v6, s0, s8, v0
	s_wait_alu 0xf1ff
	v_add_co_ci_u32_e64 v7, s0, s9, v1, s0
	v_lshlrev_b64_e32 v[4:5], 3, v[2:3]
	v_mov_b32_e32 v13, v3
	s_mov_b32 s2, exec_lo
                                        ; implicit-def: $vgpr10
                                        ; implicit-def: $vgpr16
                                        ; implicit-def: $vgpr20
                                        ; implicit-def: $vgpr18
                                        ; implicit-def: $vgpr8
                                        ; implicit-def: $vgpr14
                                        ; implicit-def: $vgpr22
                                        ; implicit-def: $vgpr24
	s_delay_alu instid0(VALU_DEP_2) | instskip(SKIP_1) | instid1(VALU_DEP_3)
	v_add_co_u32 v70, s0, v6, v4
	s_wait_alu 0xf1ff
	v_add_co_ci_u32_e64 v71, s0, v7, v5, s0
                                        ; implicit-def: $vgpr6
                                        ; implicit-def: $vgpr4
	s_clause 0x15
	global_load_b64 v[58:59], v[70:71], off
	global_load_b64 v[62:63], v[70:71], off offset:2000
	global_load_b64 v[52:53], v[70:71], off offset:4000
	;; [unrolled: 1-line block ×21, first 2 shown]
	v_cmpx_gt_u32_e32 15, v2
	s_cbranch_execz .LBB0_12
; %bb.11:
	s_clause 0xa
	global_load_b64 v[12:13], v[70:71], off offset:880
	global_load_b64 v[24:25], v[70:71], off offset:1880
	;; [unrolled: 1-line block ×11, first 2 shown]
	s_wait_loadcnt 0xa
	v_mov_b32_e32 v3, v12
.LBB0_12:
	s_wait_alu 0xfffe
	s_or_b32 exec_lo, exec_lo, s2
.LBB0_13:
	s_wait_alu 0xfffe
	s_or_b32 exec_lo, exec_lo, s1
	s_wait_loadcnt 0x3
	v_dual_add_f32 v12, v58, v68 :: v_dual_sub_f32 v73, v63, v67
	s_wait_loadcnt 0x1
	v_dual_sub_f32 v70, v69, v65 :: v_dual_add_f32 v71, v64, v68
	v_add_f32_e32 v72, v66, v62
	v_cmp_gt_u32_e64 s0, 15, v2
	v_mul_f32_e32 v79, 0xbf4178ce, v73
	s_delay_alu instid0(VALU_DEP_4) | instskip(SKIP_3) | instid1(VALU_DEP_3)
	v_mul_f32_e32 v74, 0xbf0a6770, v70
	v_add_f32_e32 v12, v12, v62
	v_dual_mul_f32 v75, 0xbf68dda4, v70 :: v_dual_mul_f32 v78, 0xbf68dda4, v73
	v_sub_f32_e32 v89, v41, v43
	v_dual_fmamk_f32 v81, v71, 0x3f575c64, v74 :: v_dual_add_f32 v12, v12, v54
	v_mul_f32_e32 v77, 0xbf4178ce, v70
	s_delay_alu instid0(VALU_DEP_4) | instskip(SKIP_1) | instid1(VALU_DEP_4)
	v_fmamk_f32 v82, v71, 0x3ed4b147, v75
	v_fma_f32 v75, 0x3ed4b147, v71, -v75
	v_dual_mul_f32 v80, 0x3e903f40, v73 :: v_dual_add_f32 v81, v81, v58
	v_add_f32_e32 v12, v12, v52
	v_fmamk_f32 v84, v71, 0xbf27a4f4, v77
	v_fma_f32 v77, 0xbf27a4f4, v71, -v77
	v_add_f32_e32 v75, v75, v58
	v_fma_f32 v74, 0x3f575c64, v71, -v74
	v_mul_f32_e32 v92, 0xbf68dda4, v89
	s_delay_alu instid0(VALU_DEP_4)
	v_dual_mul_f32 v94, 0xbf4178ce, v89 :: v_dual_add_f32 v77, v77, v58
	v_add_f32_e32 v84, v84, v58
	v_mul_f32_e32 v76, 0xbf7d64f0, v70
	v_mul_f32_e32 v70, 0xbe903f40, v70
	v_add_f32_e32 v12, v12, v48
	v_add_f32_e32 v74, v74, v58
	;; [unrolled: 1-line block ×3, first 2 shown]
	v_fmamk_f32 v83, v71, 0xbe11bafb, v76
	s_delay_alu instid0(VALU_DEP_4) | instskip(SKIP_3) | instid1(VALU_DEP_4)
	v_dual_fmamk_f32 v85, v71, 0xbf75a155, v70 :: v_dual_add_f32 v12, v12, v50
	v_fma_f32 v76, 0xbe11bafb, v71, -v76
	v_fma_f32 v70, 0xbf75a155, v71, -v70
	v_fmamk_f32 v71, v72, 0x3ed4b147, v78
	v_dual_add_f32 v85, v85, v58 :: v_dual_add_f32 v12, v56, v12
	v_dual_fmamk_f32 v86, v72, 0xbf27a4f4, v79 :: v_dual_add_f32 v83, v83, v58
	v_add_f32_e32 v82, v82, v58
	v_add_f32_e32 v76, v76, v58
	s_delay_alu instid0(VALU_DEP_4) | instskip(SKIP_3) | instid1(VALU_DEP_4)
	v_add_f32_e32 v12, v60, v12
	v_add_f32_e32 v58, v70, v58
	;; [unrolled: 1-line block ×3, first 2 shown]
	v_fma_f32 v78, 0x3ed4b147, v72, -v78
	v_add_f32_e32 v12, v66, v12
	s_delay_alu instid0(VALU_DEP_1) | instskip(SKIP_1) | instid1(VALU_DEP_1)
	v_add_f32_e32 v71, v64, v12
	v_fma_f32 v12, 0xbf27a4f4, v72, -v79
	v_dual_add_f32 v12, v75, v12 :: v_dual_mul_f32 v75, 0x3f7d64f0, v73
	v_dual_mul_f32 v73, 0x3f0a6770, v73 :: v_dual_add_f32 v74, v74, v78
	s_delay_alu instid0(VALU_DEP_2) | instskip(NEXT) | instid1(VALU_DEP_2)
	v_fmamk_f32 v81, v72, 0xbe11bafb, v75
	v_dual_add_f32 v79, v82, v86 :: v_dual_fmamk_f32 v82, v72, 0x3f575c64, v73
	v_fmamk_f32 v78, v72, 0xbf75a155, v80
	v_fma_f32 v80, 0xbf75a155, v72, -v80
	v_fma_f32 v75, 0xbe11bafb, v72, -v75
	;; [unrolled: 1-line block ×3, first 2 shown]
	s_delay_alu instid0(VALU_DEP_3) | instskip(NEXT) | instid1(VALU_DEP_3)
	v_add_f32_e32 v76, v76, v80
	v_dual_sub_f32 v80, v55, v61 :: v_dual_add_f32 v73, v77, v75
	v_add_f32_e32 v75, v85, v82
	v_add_f32_e32 v78, v83, v78
	s_delay_alu instid0(VALU_DEP_3) | instskip(SKIP_1) | instid1(VALU_DEP_2)
	v_dual_add_f32 v83, v60, v54 :: v_dual_mul_f32 v86, 0xbf7d64f0, v80
	v_mul_f32_e32 v82, 0x3e903f40, v80
	v_fmamk_f32 v77, v83, 0xbe11bafb, v86
	s_delay_alu instid0(VALU_DEP_1) | instskip(SKIP_2) | instid1(VALU_DEP_3)
	v_dual_add_f32 v70, v70, v77 :: v_dual_fmamk_f32 v77, v83, 0xbf75a155, v82
	v_dual_add_f32 v81, v84, v81 :: v_dual_mul_f32 v84, 0x3f68dda4, v80
	v_fma_f32 v82, 0xbf75a155, v83, -v82
	v_dual_add_f32 v77, v79, v77 :: v_dual_add_f32 v58, v58, v72
	v_fma_f32 v72, 0xbe11bafb, v83, -v86
	v_mul_f32_e32 v79, 0xbf0a6770, v80
	v_mul_f32_e32 v80, 0xbf4178ce, v80
	s_delay_alu instid0(VALU_DEP_3) | instskip(SKIP_2) | instid1(VALU_DEP_4)
	v_add_f32_e32 v72, v74, v72
	v_fmamk_f32 v74, v83, 0x3ed4b147, v84
	v_fma_f32 v84, 0x3ed4b147, v83, -v84
	v_fmamk_f32 v86, v83, 0xbf27a4f4, v80
	s_delay_alu instid0(VALU_DEP_3) | instskip(NEXT) | instid1(VALU_DEP_2)
	v_add_f32_e32 v74, v78, v74
	v_dual_sub_f32 v78, v53, v57 :: v_dual_add_f32 v75, v75, v86
	s_delay_alu instid0(VALU_DEP_1) | instskip(SKIP_3) | instid1(VALU_DEP_2)
	v_mul_f32_e32 v85, 0xbf4178ce, v78
	v_add_f32_e32 v12, v12, v82
	v_fmamk_f32 v82, v83, 0x3f575c64, v79
	v_fma_f32 v79, 0x3f575c64, v83, -v79
	v_dual_add_f32 v81, v81, v82 :: v_dual_add_f32 v76, v76, v84
	s_delay_alu instid0(VALU_DEP_2) | instskip(SKIP_2) | instid1(VALU_DEP_3)
	v_dual_add_f32 v84, v56, v52 :: v_dual_add_f32 v73, v73, v79
	v_fma_f32 v79, 0xbf27a4f4, v83, -v80
	v_mul_f32_e32 v83, 0x3f7d64f0, v78
	v_fmamk_f32 v80, v84, 0xbf27a4f4, v85
	v_fma_f32 v82, 0xbf27a4f4, v84, -v85
	s_delay_alu instid0(VALU_DEP_4) | instskip(NEXT) | instid1(VALU_DEP_3)
	v_dual_add_f32 v58, v58, v79 :: v_dual_mul_f32 v79, 0xbf0a6770, v78
	v_add_f32_e32 v70, v70, v80
	v_fmamk_f32 v80, v84, 0xbe11bafb, v83
	s_delay_alu instid0(VALU_DEP_3)
	v_fmamk_f32 v85, v84, 0x3f575c64, v79
	v_add_f32_e32 v72, v72, v82
	v_fma_f32 v82, 0xbe11bafb, v84, -v83
	v_mul_f32_e32 v83, 0xbe903f40, v78
	v_fma_f32 v79, 0x3f575c64, v84, -v79
	v_dual_add_f32 v77, v77, v80 :: v_dual_mul_f32 v78, 0x3f68dda4, v78
	s_delay_alu instid0(VALU_DEP_3) | instskip(NEXT) | instid1(VALU_DEP_3)
	v_fmamk_f32 v80, v84, 0xbf75a155, v83
	v_add_f32_e32 v76, v76, v79
	v_fma_f32 v79, 0xbf75a155, v84, -v83
	s_delay_alu instid0(VALU_DEP_3) | instskip(SKIP_1) | instid1(VALU_DEP_3)
	v_dual_fmamk_f32 v83, v84, 0x3ed4b147, v78 :: v_dual_add_f32 v80, v81, v80
	v_sub_f32_e32 v81, v49, v51
	v_add_f32_e32 v73, v73, v79
	v_dual_add_f32 v79, v50, v48 :: v_dual_add_f32 v12, v12, v82
	s_delay_alu instid0(VALU_DEP_4) | instskip(NEXT) | instid1(VALU_DEP_4)
	v_dual_add_f32 v82, v36, v44 :: v_dual_add_f32 v75, v75, v83
	v_mul_f32_e32 v83, 0x3f0a6770, v81
	v_fma_f32 v78, 0x3ed4b147, v84, -v78
	s_delay_alu instid0(VALU_DEP_3) | instskip(NEXT) | instid1(VALU_DEP_2)
	v_add_f32_e32 v82, v82, v40
	v_add_f32_e32 v58, v58, v78
	s_delay_alu instid0(VALU_DEP_4) | instskip(NEXT) | instid1(VALU_DEP_3)
	v_fmamk_f32 v78, v79, 0x3f575c64, v83
	v_add_f32_e32 v82, v82, v34
	s_delay_alu instid0(VALU_DEP_2) | instskip(NEXT) | instid1(VALU_DEP_2)
	v_add_f32_e32 v77, v77, v78
	v_add_f32_e32 v82, v82, v30
	v_fma_f32 v78, 0x3f575c64, v79, -v83
	s_delay_alu instid0(VALU_DEP_2) | instskip(NEXT) | instid1(VALU_DEP_2)
	v_dual_mul_f32 v83, 0x3f68dda4, v81 :: v_dual_add_f32 v82, v82, v26
	v_add_f32_e32 v78, v12, v78
	s_delay_alu instid0(VALU_DEP_2) | instskip(NEXT) | instid1(VALU_DEP_3)
	v_add_f32_e32 v12, v82, v28
	v_fmamk_f32 v82, v79, 0x3ed4b147, v83
	s_delay_alu instid0(VALU_DEP_2) | instskip(NEXT) | instid1(VALU_DEP_2)
	v_add_f32_e32 v12, v32, v12
	v_add_f32_e32 v80, v80, v82
	v_fma_f32 v82, 0x3ed4b147, v79, -v83
	s_wait_loadcnt 0x0
	v_dual_sub_f32 v83, v45, v47 :: v_dual_add_f32 v74, v74, v85
	v_dual_mul_f32 v85, 0xbe903f40, v81 :: v_dual_add_f32 v12, v38, v12
	s_delay_alu instid0(VALU_DEP_2) | instskip(SKIP_1) | instid1(VALU_DEP_3)
	v_dual_add_f32 v73, v73, v82 :: v_dual_mul_f32 v82, 0xbf68dda4, v83
	v_mul_f32_e32 v88, 0xbf4178ce, v83
	v_fmamk_f32 v84, v79, 0xbf75a155, v85
	v_fma_f32 v85, 0xbf75a155, v79, -v85
	v_add_f32_e32 v12, v42, v12
	s_delay_alu instid0(VALU_DEP_3) | instskip(SKIP_1) | instid1(VALU_DEP_4)
	v_add_f32_e32 v70, v70, v84
	v_mul_f32_e32 v84, 0xbf4178ce, v81
	v_add_f32_e32 v72, v72, v85
	v_mul_f32_e32 v81, 0xbf7d64f0, v81
	s_delay_alu instid0(VALU_DEP_3) | instskip(SKIP_1) | instid1(VALU_DEP_2)
	v_fmamk_f32 v85, v79, 0xbf27a4f4, v84
	v_fma_f32 v84, 0xbf27a4f4, v79, -v84
	v_add_f32_e32 v74, v74, v85
	s_delay_alu instid0(VALU_DEP_2) | instskip(SKIP_4) | instid1(VALU_DEP_3)
	v_add_f32_e32 v76, v76, v84
	v_fmamk_f32 v84, v79, 0xbe11bafb, v81
	v_fma_f32 v79, 0xbe11bafb, v79, -v81
	v_add_f32_e32 v81, v46, v44
	v_mul_f32_e32 v85, 0xbf0a6770, v83
	v_dual_add_f32 v75, v75, v84 :: v_dual_add_f32 v58, v58, v79
	s_delay_alu instid0(VALU_DEP_2)
	v_dual_add_f32 v84, v46, v12 :: v_dual_fmamk_f32 v79, v81, 0x3f575c64, v85
	v_fma_f32 v12, 0x3f575c64, v81, -v85
	v_mul_f32_e32 v85, 0xbf7d64f0, v83
	v_mul_f32_e32 v83, 0xbe903f40, v83
	v_fmamk_f32 v86, v81, 0x3ed4b147, v82
	v_fma_f32 v82, 0x3ed4b147, v81, -v82
	v_fmamk_f32 v90, v81, 0xbf27a4f4, v88
	v_fmamk_f32 v87, v81, 0xbe11bafb, v85
	v_fma_f32 v85, 0xbe11bafb, v81, -v85
	v_fma_f32 v88, 0xbf27a4f4, v81, -v88
	v_fmamk_f32 v93, v81, 0xbf75a155, v83
	v_fma_f32 v81, 0xbf75a155, v81, -v83
	v_add_f32_e32 v79, v79, v36
	v_add_f32_e32 v12, v12, v36
	;; [unrolled: 1-line block ×7, first 2 shown]
	v_dual_add_f32 v88, v88, v36 :: v_dual_fmamk_f32 v83, v91, 0x3ed4b147, v92
	v_add_f32_e32 v93, v93, v36
	v_fma_f32 v92, 0x3ed4b147, v91, -v92
	v_dual_add_f32 v36, v81, v36 :: v_dual_mul_f32 v81, 0x3e903f40, v89
	s_delay_alu instid0(VALU_DEP_4) | instskip(NEXT) | instid1(VALU_DEP_3)
	v_add_f32_e32 v79, v79, v83
	v_dual_fmamk_f32 v83, v91, 0xbf27a4f4, v94 :: v_dual_add_f32 v12, v12, v92
	v_fma_f32 v92, 0xbf27a4f4, v91, -v94
	v_mul_f32_e32 v94, 0x3f7d64f0, v89
	v_fmamk_f32 v95, v91, 0xbf75a155, v81
	v_fma_f32 v81, 0xbf75a155, v91, -v81
	v_add_f32_e32 v83, v86, v83
	v_mul_f32_e32 v89, 0x3f0a6770, v89
	v_fmamk_f32 v86, v91, 0xbe11bafb, v94
	s_delay_alu instid0(VALU_DEP_4) | instskip(SKIP_1) | instid1(VALU_DEP_3)
	v_dual_add_f32 v82, v82, v92 :: v_dual_add_f32 v81, v85, v81
	v_sub_f32_e32 v85, v35, v39
	v_dual_add_f32 v87, v87, v95 :: v_dual_add_f32 v86, v90, v86
	v_fma_f32 v90, 0xbe11bafb, v91, -v94
	v_fmamk_f32 v92, v91, 0x3f575c64, v89
	s_delay_alu instid0(VALU_DEP_4) | instskip(SKIP_1) | instid1(VALU_DEP_4)
	v_dual_add_f32 v94, v38, v34 :: v_dual_mul_f32 v95, 0xbf7d64f0, v85
	v_fma_f32 v89, 0x3f575c64, v91, -v89
	v_add_f32_e32 v88, v88, v90
	s_delay_alu instid0(VALU_DEP_4) | instskip(SKIP_1) | instid1(VALU_DEP_4)
	v_dual_add_f32 v90, v93, v92 :: v_dual_mul_f32 v91, 0x3e903f40, v85
	v_mul_f32_e32 v93, 0x3f68dda4, v85
	v_add_f32_e32 v36, v36, v89
	v_fma_f32 v89, 0xbe11bafb, v94, -v95
	v_fmamk_f32 v92, v94, 0xbe11bafb, v95
	v_fmamk_f32 v95, v94, 0xbf75a155, v91
	v_fma_f32 v91, 0xbf75a155, v94, -v91
	s_delay_alu instid0(VALU_DEP_4) | instskip(NEXT) | instid1(VALU_DEP_2)
	v_dual_add_f32 v12, v12, v89 :: v_dual_fmamk_f32 v89, v94, 0x3ed4b147, v93
	v_dual_add_f32 v79, v79, v92 :: v_dual_add_f32 v82, v82, v91
	v_mul_f32_e32 v91, 0xbf0a6770, v85
	v_mul_f32_e32 v85, 0xbf4178ce, v85
	s_delay_alu instid0(VALU_DEP_4) | instskip(SKIP_4) | instid1(VALU_DEP_4)
	v_add_f32_e32 v87, v87, v89
	v_sub_f32_e32 v89, v31, v33
	v_add_f32_e32 v83, v83, v95
	v_fma_f32 v92, 0x3ed4b147, v94, -v93
	v_fmamk_f32 v93, v94, 0xbf27a4f4, v85
	v_dual_add_f32 v95, v32, v30 :: v_dual_mul_f32 v96, 0xbf4178ce, v89
	v_fma_f32 v85, 0xbf27a4f4, v94, -v85
	s_delay_alu instid0(VALU_DEP_3) | instskip(NEXT) | instid1(VALU_DEP_3)
	v_dual_add_f32 v81, v81, v92 :: v_dual_add_f32 v90, v90, v93
	v_fma_f32 v93, 0xbf27a4f4, v95, -v96
	s_delay_alu instid0(VALU_DEP_3) | instskip(SKIP_1) | instid1(VALU_DEP_1)
	v_add_f32_e32 v36, v36, v85
	v_mul_f32_e32 v85, 0xbf0a6770, v89
	v_dual_add_f32 v12, v12, v93 :: v_dual_fmamk_f32 v93, v95, 0x3f575c64, v85
	v_fma_f32 v85, 0x3f575c64, v95, -v85
	s_delay_alu instid0(VALU_DEP_2) | instskip(NEXT) | instid1(VALU_DEP_2)
	v_add_f32_e32 v87, v87, v93
	v_add_f32_e32 v81, v81, v85
	v_dual_sub_f32 v85, v27, v29 :: v_dual_fmamk_f32 v92, v94, 0x3f575c64, v91
	v_fma_f32 v91, 0x3f575c64, v94, -v91
	v_dual_add_f32 v93, v28, v26 :: v_dual_mul_f32 v94, 0xbe903f40, v89
	s_delay_alu instid0(VALU_DEP_3) | instskip(NEXT) | instid1(VALU_DEP_3)
	v_add_f32_e32 v86, v86, v92
	v_dual_add_f32 v88, v88, v91 :: v_dual_fmamk_f32 v91, v95, 0xbf27a4f4, v96
	v_mul_f32_e32 v92, 0x3f7d64f0, v89
	v_mul_f32_e32 v89, 0x3f68dda4, v89
	s_delay_alu instid0(VALU_DEP_3) | instskip(NEXT) | instid1(VALU_DEP_3)
	v_add_f32_e32 v79, v79, v91
	v_fmamk_f32 v91, v95, 0xbe11bafb, v92
	v_fma_f32 v92, 0xbe11bafb, v95, -v92
	s_delay_alu instid0(VALU_DEP_2) | instskip(NEXT) | instid1(VALU_DEP_2)
	v_add_f32_e32 v83, v83, v91
	v_dual_fmamk_f32 v91, v95, 0xbf75a155, v94 :: v_dual_add_f32 v82, v82, v92
	v_fma_f32 v92, 0xbf75a155, v95, -v94
	v_mul_f32_e32 v94, 0xbe903f40, v85
	s_delay_alu instid0(VALU_DEP_3) | instskip(NEXT) | instid1(VALU_DEP_3)
	v_dual_add_f32 v86, v86, v91 :: v_dual_fmamk_f32 v91, v95, 0x3ed4b147, v89
	v_add_f32_e32 v88, v88, v92
	v_fma_f32 v89, 0x3ed4b147, v95, -v89
	v_mul_f32_e32 v92, 0x3f0a6770, v85
	s_delay_alu instid0(VALU_DEP_4) | instskip(SKIP_2) | instid1(VALU_DEP_4)
	v_dual_mul_f32 v95, 0xbf4178ce, v85 :: v_dual_add_f32 v90, v90, v91
	v_fmamk_f32 v91, v93, 0xbf75a155, v94
	v_fma_f32 v94, 0xbf75a155, v93, -v94
	v_dual_add_f32 v36, v36, v89 :: v_dual_fmamk_f32 v89, v93, 0x3f575c64, v92
	s_delay_alu instid0(VALU_DEP_3) | instskip(NEXT) | instid1(VALU_DEP_3)
	v_add_f32_e32 v79, v79, v91
	v_add_f32_e32 v91, v12, v94
	v_fma_f32 v12, 0x3f575c64, v93, -v92
	s_delay_alu instid0(VALU_DEP_4)
	v_add_f32_e32 v83, v83, v89
	v_fmamk_f32 v89, v93, 0xbf27a4f4, v95
	v_fma_f32 v92, 0xbf27a4f4, v93, -v95
	v_mul_f32_e32 v94, 0x3f68dda4, v85
	v_add_f32_e32 v82, v82, v12
	v_mul_f32_e32 v12, 0xbf7d64f0, v85
	v_add_f32_e32 v85, v87, v89
	v_add_f32_e32 v81, v81, v92
	v_fmamk_f32 v87, v93, 0x3ed4b147, v94
	v_fma_f32 v89, 0x3ed4b147, v93, -v94
	v_fmamk_f32 v92, v93, 0xbe11bafb, v12
	v_fma_f32 v93, 0xbe11bafb, v93, -v12
	v_mad_u32_u24 v12, v2, 44, 0
	ds_store_2addr_b32 v12, v71, v70 offset1:1
	ds_store_2addr_b32 v12, v77, v74 offset0:2 offset1:3
	ds_store_2addr_b32 v12, v80, v75 offset0:4 offset1:5
	ds_store_2addr_b32 v12, v58, v73 offset0:6 offset1:7
	ds_store_2addr_b32 v12, v76, v78 offset0:8 offset1:9
	ds_store_b32 v12, v72 offset:40
	v_add_nc_u32_e32 v58, 0x974, v12
	v_add_nc_u32_e32 v70, 0x97c, v12
	;; [unrolled: 1-line block ×4, first 2 shown]
	v_dual_add_f32 v86, v86, v87 :: v_dual_add_nc_u32 v73, 0x994, v12
	v_dual_add_f32 v87, v88, v89 :: v_dual_add_f32 v88, v90, v92
	v_add_f32_e32 v36, v36, v93
	ds_store_2addr_b32 v70, v83, v85 offset1:1
	ds_store_2addr_b32 v71, v86, v88 offset1:1
	;; [unrolled: 1-line block ×5, first 2 shown]
	ds_store_b32 v12, v91 offset:2460
	s_and_saveexec_b32 s1, s0
	s_cbranch_execz .LBB0_15
; %bb.14:
	v_dual_add_f32 v36, v24, v18 :: v_dual_add_f32 v75, v22, v20
	v_dual_sub_f32 v74, v25, v19 :: v_dual_add_f32 v77, v14, v16
	v_dual_sub_f32 v76, v23, v21 :: v_dual_sub_f32 v81, v9, v11
	s_delay_alu instid0(VALU_DEP_3) | instskip(SKIP_2) | instid1(VALU_DEP_3)
	v_dual_mul_f32 v78, 0xbf75a155, v36 :: v_dual_sub_f32 v79, v15, v17
	v_add_f32_e32 v80, v8, v10
	v_dual_add_f32 v84, v4, v6 :: v_dual_sub_f32 v85, v5, v7
	v_fmamk_f32 v83, v74, 0x3e903f40, v78
	v_mul_f32_e32 v86, 0xbf27a4f4, v77
	v_fmac_f32_e32 v78, 0xbe903f40, v74
	v_mul_f32_e32 v92, 0xbe11bafb, v36
	s_delay_alu instid0(VALU_DEP_4) | instskip(NEXT) | instid1(VALU_DEP_4)
	v_dual_mul_f32 v94, 0xbf27a4f4, v84 :: v_dual_add_f32 v83, v3, v83
	v_fmamk_f32 v90, v79, 0x3f4178ce, v86
	v_mul_f32_e32 v82, 0x3f575c64, v75
	v_fmac_f32_e32 v86, 0xbf4178ce, v79
	s_delay_alu instid0(VALU_DEP_4) | instskip(SKIP_1) | instid1(VALU_DEP_4)
	v_dual_add_f32 v78, v3, v78 :: v_dual_fmamk_f32 v95, v85, 0x3f4178ce, v94
	v_fmac_f32_e32 v94, 0xbf4178ce, v85
	v_fmamk_f32 v87, v76, 0xbf0a6770, v82
	v_mul_f32_e32 v88, 0x3ed4b147, v80
	v_dual_mul_f32 v96, 0xbf75a155, v77 :: v_dual_mul_f32 v93, 0xbf75a155, v75
	s_delay_alu instid0(VALU_DEP_3) | instskip(NEXT) | instid1(VALU_DEP_3)
	v_add_f32_e32 v83, v83, v87
	v_fmamk_f32 v91, v81, 0xbf68dda4, v88
	s_delay_alu instid0(VALU_DEP_2) | instskip(NEXT) | instid1(VALU_DEP_1)
	v_dual_fmac_f32 v88, 0x3f68dda4, v81 :: v_dual_add_f32 v83, v83, v90
	v_dual_add_f32 v83, v83, v91 :: v_dual_fmac_f32 v82, 0x3f0a6770, v76
	s_delay_alu instid0(VALU_DEP_1) | instskip(NEXT) | instid1(VALU_DEP_1)
	v_dual_mul_f32 v89, 0xbe11bafb, v84 :: v_dual_add_f32 v78, v78, v82
	v_dual_mul_f32 v87, 0xbf27a4f4, v36 :: v_dual_add_f32 v78, v78, v86
	s_delay_alu instid0(VALU_DEP_1) | instskip(NEXT) | instid1(VALU_DEP_1)
	v_dual_mul_f32 v91, 0xbe11bafb, v75 :: v_dual_add_f32 v78, v78, v88
	v_fmamk_f32 v86, v76, 0xbf7d64f0, v91
	v_fmac_f32_e32 v91, 0x3f7d64f0, v76
	s_delay_alu instid0(VALU_DEP_4) | instskip(SKIP_2) | instid1(VALU_DEP_2)
	v_fmamk_f32 v82, v74, 0x3f4178ce, v87
	v_fmac_f32_e32 v87, 0xbf4178ce, v74
	v_fmamk_f32 v90, v85, 0x3f7d64f0, v89
	v_dual_mul_f32 v88, 0xbf75a155, v80 :: v_dual_add_f32 v87, v3, v87
	s_delay_alu instid0(VALU_DEP_2) | instskip(NEXT) | instid1(VALU_DEP_2)
	v_add_f32_e32 v83, v83, v90
	v_add_f32_e32 v87, v87, v91
	v_dual_add_f32 v82, v3, v82 :: v_dual_fmamk_f32 v91, v74, 0x3f7d64f0, v92
	v_fmac_f32_e32 v92, 0xbf7d64f0, v74
	v_mul_f32_e32 v90, 0x3f575c64, v77
	s_delay_alu instid0(VALU_DEP_3) | instskip(NEXT) | instid1(VALU_DEP_2)
	v_dual_fmac_f32 v89, 0xbf7d64f0, v85 :: v_dual_add_f32 v82, v82, v86
	v_fmamk_f32 v86, v79, 0x3f0a6770, v90
	s_delay_alu instid0(VALU_DEP_2) | instskip(SKIP_1) | instid1(VALU_DEP_3)
	v_dual_add_f32 v78, v78, v89 :: v_dual_mul_f32 v89, 0x3ed4b147, v84
	v_fmac_f32_e32 v90, 0xbf0a6770, v79
	v_add_f32_e32 v82, v82, v86
	v_fmamk_f32 v86, v81, 0x3e903f40, v88
	s_delay_alu instid0(VALU_DEP_3) | instskip(SKIP_1) | instid1(VALU_DEP_3)
	v_dual_fmac_f32 v88, 0xbe903f40, v81 :: v_dual_add_f32 v87, v87, v90
	v_fmamk_f32 v90, v76, 0xbe903f40, v93
	v_dual_fmac_f32 v93, 0x3e903f40, v76 :: v_dual_add_f32 v82, v82, v86
	s_delay_alu instid0(VALU_DEP_3) | instskip(NEXT) | instid1(VALU_DEP_1)
	v_dual_fmamk_f32 v86, v85, 0xbf68dda4, v89 :: v_dual_add_f32 v87, v87, v88
	v_dual_fmac_f32 v89, 0x3f68dda4, v85 :: v_dual_add_f32 v82, v82, v86
	v_dual_add_f32 v86, v3, v91 :: v_dual_mul_f32 v91, 0x3ed4b147, v77
	s_delay_alu instid0(VALU_DEP_2) | instskip(SKIP_2) | instid1(VALU_DEP_4)
	v_add_f32_e32 v87, v87, v89
	v_add_f32_e32 v89, v3, v92
	v_mul_f32_e32 v92, 0x3ed4b147, v36
	v_add_f32_e32 v86, v86, v90
	v_fmamk_f32 v88, v79, 0xbf68dda4, v91
	s_delay_alu instid0(VALU_DEP_4) | instskip(SKIP_1) | instid1(VALU_DEP_3)
	v_dual_mul_f32 v90, 0x3f575c64, v80 :: v_dual_add_f32 v89, v89, v93
	v_fmac_f32_e32 v91, 0x3f68dda4, v79
	v_dual_mul_f32 v93, 0xbf27a4f4, v75 :: v_dual_add_f32 v86, v86, v88
	s_delay_alu instid0(VALU_DEP_3) | instskip(NEXT) | instid1(VALU_DEP_3)
	v_fmamk_f32 v88, v81, 0x3f0a6770, v90
	v_dual_fmac_f32 v90, 0xbf0a6770, v81 :: v_dual_add_f32 v89, v89, v91
	v_mul_f32_e32 v75, 0x3ed4b147, v75
	s_delay_alu instid0(VALU_DEP_3) | instskip(NEXT) | instid1(VALU_DEP_3)
	v_dual_fmamk_f32 v91, v76, 0x3f4178ce, v93 :: v_dual_add_f32 v86, v86, v88
	v_dual_fmamk_f32 v88, v74, 0x3f68dda4, v92 :: v_dual_add_f32 v89, v89, v90
	v_fmac_f32_e32 v92, 0xbf68dda4, v74
	v_fmac_f32_e32 v93, 0xbf4178ce, v76
	v_mul_f32_e32 v36, 0x3f575c64, v36
	s_delay_alu instid0(VALU_DEP_4) | instskip(NEXT) | instid1(VALU_DEP_4)
	v_dual_add_f32 v86, v86, v95 :: v_dual_add_f32 v89, v89, v94
	v_add_f32_e32 v92, v3, v92
	s_delay_alu instid0(VALU_DEP_3) | instskip(SKIP_2) | instid1(VALU_DEP_3)
	v_dual_add_f32 v94, v3, v24 :: v_dual_fmamk_f32 v95, v74, 0x3f0a6770, v36
	v_fmac_f32_e32 v36, 0xbf0a6770, v74
	v_fmamk_f32 v90, v79, 0xbe903f40, v96
	v_dual_add_f32 v92, v92, v93 :: v_dual_add_f32 v93, v94, v22
	v_fmac_f32_e32 v96, 0x3e903f40, v79
	v_mul_f32_e32 v77, 0xbe11bafb, v77
	s_delay_alu instid0(VALU_DEP_3) | instskip(NEXT) | instid1(VALU_DEP_1)
	v_add_f32_e32 v93, v93, v14
	v_dual_add_f32 v74, v93, v8 :: v_dual_fmamk_f32 v93, v76, 0x3f68dda4, v75
	v_add_f32_e32 v88, v3, v88
	v_fmac_f32_e32 v75, 0xbf68dda4, v76
	v_fmamk_f32 v76, v79, 0x3f7d64f0, v77
	v_dual_fmac_f32 v77, 0xbf7d64f0, v79 :: v_dual_add_f32 v92, v92, v96
	s_delay_alu instid0(VALU_DEP_4) | instskip(SKIP_1) | instid1(VALU_DEP_2)
	v_dual_add_f32 v88, v88, v91 :: v_dual_mul_f32 v91, 0xbe11bafb, v80
	v_mul_f32_e32 v80, 0xbf27a4f4, v80
	v_add_f32_e32 v88, v88, v90
	s_delay_alu instid0(VALU_DEP_3) | instskip(NEXT) | instid1(VALU_DEP_1)
	v_fmamk_f32 v90, v81, 0xbf7d64f0, v91
	v_dual_fmac_f32 v91, 0x3f7d64f0, v81 :: v_dual_add_f32 v88, v88, v90
	s_delay_alu instid0(VALU_DEP_1) | instskip(SKIP_4) | instid1(VALU_DEP_3)
	v_add_f32_e32 v91, v92, v91
	v_add_f32_e32 v92, v3, v95
	;; [unrolled: 1-line block ×4, first 2 shown]
	v_mul_f32_e32 v90, 0x3f575c64, v84
	v_dual_add_f32 v74, v92, v93 :: v_dual_add_f32 v3, v3, v75
	s_delay_alu instid0(VALU_DEP_3) | instskip(SKIP_2) | instid1(VALU_DEP_4)
	v_dual_add_f32 v36, v36, v6 :: v_dual_fmamk_f32 v75, v81, 0x3f4178ce, v80
	v_fmac_f32_e32 v80, 0xbf4178ce, v81
	v_add_nc_u32_e32 v81, 0x1308, v12
	v_add_f32_e32 v74, v74, v76
	s_delay_alu instid0(VALU_DEP_4) | instskip(SKIP_3) | instid1(VALU_DEP_4)
	v_add_f32_e32 v36, v10, v36
	v_dual_mul_f32 v76, 0xbf75a155, v84 :: v_dual_add_f32 v3, v3, v77
	v_fmamk_f32 v94, v85, 0xbf0a6770, v90
	v_fmac_f32_e32 v90, 0x3f0a6770, v85
	v_add_f32_e32 v36, v16, v36
	s_delay_alu instid0(VALU_DEP_4) | instskip(SKIP_1) | instid1(VALU_DEP_3)
	v_dual_add_f32 v74, v74, v75 :: v_dual_fmamk_f32 v75, v85, 0x3e903f40, v76
	v_dual_add_f32 v3, v3, v80 :: v_dual_fmac_f32 v76, 0xbe903f40, v85
	v_dual_add_f32 v36, v20, v36 :: v_dual_add_f32 v79, v91, v90
	s_delay_alu instid0(VALU_DEP_3) | instskip(NEXT) | instid1(VALU_DEP_3)
	v_dual_add_f32 v74, v74, v75 :: v_dual_add_nc_u32 v75, 0x12f0, v12
	v_add_f32_e32 v3, v3, v76
	v_add_nc_u32_e32 v76, 0x12f8, v12
	v_dual_add_f32 v77, v88, v94 :: v_dual_add_nc_u32 v80, 0x1300, v12
	v_add_f32_e32 v36, v18, v36
	v_add_nc_u32_e32 v84, 0x12e8, v12
	ds_store_2addr_b32 v75, v79, v89 offset1:1
	ds_store_2addr_b32 v76, v87, v78 offset1:1
	;; [unrolled: 1-line block ×5, first 2 shown]
	ds_store_b32 v12, v74 offset:4880
.LBB0_15:
	s_wait_alu 0xfffe
	s_or_b32 exec_lo, exec_lo, s1
	v_dual_add_f32 v3, v59, v69 :: v_dual_sub_f32 v36, v68, v64
	v_add_f32_e32 v64, v65, v69
	v_sub_f32_e32 v62, v62, v66
	v_add_f32_e32 v68, v67, v63
	s_delay_alu instid0(VALU_DEP_4)
	v_add_f32_e32 v3, v3, v63
	v_mul_f32_e32 v63, 0xbf0a6770, v36
	v_mul_f32_e32 v66, 0xbf68dda4, v36
	;; [unrolled: 1-line block ×3, first 2 shown]
	global_wb scope:SCOPE_SE
	s_wait_dscnt 0x0
	v_dual_add_f32 v3, v3, v55 :: v_dual_mul_f32 v74, 0xbf4178ce, v36
	v_fma_f32 v78, 0x3f575c64, v64, -v63
	v_mul_f32_e32 v75, 0xbf68dda4, v62
	v_fma_f32 v79, 0x3ed4b147, v64, -v66
	s_delay_alu instid0(VALU_DEP_4) | instskip(SKIP_3) | instid1(VALU_DEP_4)
	v_dual_add_f32 v3, v3, v53 :: v_dual_mul_f32 v36, 0xbe903f40, v36
	v_fma_f32 v80, 0xbe11bafb, v64, -v69
	v_fmac_f32_e32 v63, 0x3f575c64, v64
	v_fma_f32 v81, 0xbf27a4f4, v64, -v74
	v_dual_add_f32 v3, v3, v49 :: v_dual_mul_f32 v76, 0xbf4178ce, v62
	v_fma_f32 v82, 0xbf75a155, v64, -v36
	v_fmac_f32_e32 v69, 0xbe11bafb, v64
	v_dual_fmac_f32 v36, 0xbf75a155, v64 :: v_dual_add_f32 v79, v79, v59
	s_delay_alu instid0(VALU_DEP_4) | instskip(SKIP_3) | instid1(VALU_DEP_4)
	v_dual_add_f32 v3, v3, v51 :: v_dual_fmac_f32 v66, 0x3ed4b147, v64
	v_add_f32_e32 v78, v78, v59
	v_add_f32_e32 v80, v80, v59
	v_dual_fmac_f32 v74, 0xbf27a4f4, v64 :: v_dual_add_f32 v63, v63, v59
	v_add_f32_e32 v3, v57, v3
	v_fma_f32 v64, 0x3ed4b147, v68, -v75
	v_dual_fmac_f32 v75, 0x3ed4b147, v68 :: v_dual_add_f32 v36, v36, v59
	v_dual_mul_f32 v77, 0x3e903f40, v62 :: v_dual_add_f32 v66, v66, v59
	s_delay_alu instid0(VALU_DEP_4) | instskip(SKIP_1) | instid1(VALU_DEP_4)
	v_add_f32_e32 v3, v61, v3
	v_fma_f32 v83, 0xbf27a4f4, v68, -v76
	v_dual_fmac_f32 v76, 0xbf27a4f4, v68 :: v_dual_add_f32 v63, v63, v75
	v_dual_mul_f32 v75, 0x3f7d64f0, v62 :: v_dual_sub_f32 v52, v52, v56
	s_delay_alu instid0(VALU_DEP_4) | instskip(NEXT) | instid1(VALU_DEP_3)
	v_dual_add_f32 v3, v67, v3 :: v_dual_mul_f32 v62, 0x3f0a6770, v62
	v_dual_add_f32 v81, v81, v59 :: v_dual_add_f32 v66, v66, v76
	s_delay_alu instid0(VALU_DEP_2) | instskip(NEXT) | instid1(VALU_DEP_4)
	v_dual_sub_f32 v54, v54, v60 :: v_dual_add_f32 v3, v65, v3
	v_fma_f32 v60, 0xbe11bafb, v68, -v75
	v_add_f32_e32 v67, v74, v59
	v_add_f32_e32 v74, v82, v59
	;; [unrolled: 1-line block ×3, first 2 shown]
	v_fma_f32 v76, 0x3f575c64, v68, -v62
	v_fmac_f32_e32 v62, 0x3f575c64, v68
	v_add_f32_e32 v59, v78, v64
	v_fma_f32 v64, 0xbf75a155, v68, -v77
	v_fmac_f32_e32 v75, 0xbe11bafb, v68
	v_add_f32_e32 v55, v61, v55
	v_add_f32_e32 v65, v79, v83
	v_fmac_f32_e32 v77, 0xbf75a155, v68
	v_add_f32_e32 v64, v80, v64
	v_dual_add_f32 v60, v81, v60 :: v_dual_mul_f32 v61, 0xbf7d64f0, v54
	v_dual_add_f32 v67, v67, v75 :: v_dual_add_f32 v68, v74, v76
	v_mul_f32_e32 v75, 0x3e903f40, v54
	v_add_f32_e32 v36, v36, v62
	s_delay_alu instid0(VALU_DEP_4)
	v_fma_f32 v74, 0xbe11bafb, v55, -v61
	v_mul_f32_e32 v62, 0x3f68dda4, v54
	s_barrier_signal -1
	s_barrier_wait -1
	global_inv scope:SCOPE_SE
	v_add_f32_e32 v59, v59, v74
	v_fma_f32 v74, 0xbf75a155, v55, -v75
	v_sub_f32_e32 v48, v48, v50
	v_add_f32_e32 v50, v37, v45
	v_dual_add_f32 v49, v51, v49 :: v_dual_sub_f32 v44, v44, v46
	s_delay_alu instid0(VALU_DEP_4)
	v_add_f32_e32 v65, v65, v74
	v_mul_f32_e32 v74, 0xbf0a6770, v54
	v_fmac_f32_e32 v75, 0xbf75a155, v55
	v_mul_f32_e32 v54, 0xbf4178ce, v54
	v_add_f32_e32 v50, v50, v41
	v_add_f32_e32 v45, v47, v45
	v_fma_f32 v56, 0x3f575c64, v55, -v74
	v_dual_add_f32 v66, v66, v75 :: v_dual_add_f32 v69, v69, v77
	v_fmac_f32_e32 v74, 0x3f575c64, v55
	v_add_f32_e32 v50, v50, v35
	s_delay_alu instid0(VALU_DEP_4) | instskip(SKIP_1) | instid1(VALU_DEP_4)
	v_dual_add_f32 v56, v60, v56 :: v_dual_fmac_f32 v61, 0xbe11bafb, v55
	v_sub_f32_e32 v40, v40, v42
	v_dual_add_f32 v60, v67, v74 :: v_dual_mul_f32 v67, 0x3f7d64f0, v52
	s_delay_alu instid0(VALU_DEP_3) | instskip(SKIP_2) | instid1(VALU_DEP_3)
	v_dual_add_f32 v50, v50, v31 :: v_dual_add_f32 v61, v63, v61
	v_fma_f32 v63, 0x3ed4b147, v55, -v62
	v_dual_fmac_f32 v62, 0x3ed4b147, v55 :: v_dual_add_f32 v53, v57, v53
	v_dual_mul_f32 v57, 0xbf4178ce, v52 :: v_dual_add_f32 v50, v50, v27
	s_delay_alu instid0(VALU_DEP_3) | instskip(SKIP_2) | instid1(VALU_DEP_4)
	v_add_f32_e32 v63, v64, v63
	v_fma_f32 v64, 0xbf27a4f4, v55, -v54
	v_fmac_f32_e32 v54, 0xbf27a4f4, v55
	v_fma_f32 v55, 0xbf27a4f4, v53, -v57
	v_dual_add_f32 v62, v69, v62 :: v_dual_mul_f32 v51, 0xbe903f40, v48
	v_add_f32_e32 v50, v50, v29
	s_delay_alu instid0(VALU_DEP_4) | instskip(NEXT) | instid1(VALU_DEP_4)
	v_add_f32_e32 v36, v36, v54
	v_dual_add_f32 v54, v59, v55 :: v_dual_fmac_f32 v57, 0xbf27a4f4, v53
	v_fma_f32 v59, 0xbe11bafb, v53, -v67
	v_dual_fmac_f32 v67, 0xbe11bafb, v53 :: v_dual_add_f32 v64, v68, v64
	v_add_f32_e32 v50, v33, v50
	s_delay_alu instid0(VALU_DEP_4) | instskip(SKIP_2) | instid1(VALU_DEP_4)
	v_add_f32_e32 v57, v61, v57
	v_mul_f32_e32 v61, 0xbe903f40, v52
	v_add_f32_e32 v59, v65, v59
	v_dual_add_f32 v65, v66, v67 :: v_dual_add_f32 v50, v39, v50
	v_add_f32_e32 v41, v43, v41
	s_delay_alu instid0(VALU_DEP_4)
	v_fma_f32 v66, 0xbf75a155, v53, -v61
	v_fmac_f32_e32 v61, 0xbf75a155, v53
	v_mul_f32_e32 v55, 0xbf0a6770, v52
	v_mul_f32_e32 v52, 0x3f68dda4, v52
	v_add_f32_e32 v50, v43, v50
	v_add_f32_e32 v56, v56, v66
	;; [unrolled: 1-line block ×3, first 2 shown]
	v_fma_f32 v68, 0x3f575c64, v53, -v55
	s_delay_alu instid0(VALU_DEP_4) | instskip(SKIP_2) | instid1(VALU_DEP_3)
	v_dual_fmac_f32 v55, 0x3f575c64, v53 :: v_dual_add_f32 v50, v47, v50
	v_mul_f32_e32 v42, 0xbe903f40, v44
	v_dual_sub_f32 v34, v34, v38 :: v_dual_add_f32 v35, v39, v35
	v_add_f32_e32 v55, v62, v55
	v_fma_f32 v62, 0x3ed4b147, v53, -v52
	v_fmac_f32_e32 v52, 0x3ed4b147, v53
	v_mul_f32_e32 v53, 0x3f0a6770, v48
	v_dual_mul_f32 v39, 0xbf7d64f0, v34 :: v_dual_sub_f32 v30, v30, v32
	s_delay_alu instid0(VALU_DEP_3) | instskip(NEXT) | instid1(VALU_DEP_3)
	v_dual_add_f32 v31, v33, v31 :: v_dual_add_f32 v36, v36, v52
	v_fma_f32 v52, 0x3f575c64, v49, -v53
	v_dual_sub_f32 v26, v26, v28 :: v_dual_add_f32 v27, v29, v27
	s_delay_alu instid0(VALU_DEP_2) | instskip(SKIP_4) | instid1(VALU_DEP_3)
	v_add_f32_e32 v67, v59, v52
	v_dual_mul_f32 v52, 0x3f68dda4, v48 :: v_dual_add_f32 v61, v64, v62
	v_fma_f32 v62, 0xbf75a155, v49, -v51
	v_fmac_f32_e32 v51, 0xbf75a155, v49
	v_dual_add_f32 v63, v63, v68 :: v_dual_mul_f32 v80, 0xbf7d64f0, v26
	v_add_f32_e32 v64, v54, v62
	s_delay_alu instid0(VALU_DEP_3)
	v_dual_add_f32 v66, v57, v51 :: v_dual_mul_f32 v51, 0xbf4178ce, v48
	v_mul_f32_e32 v48, 0xbf7d64f0, v48
	v_fmac_f32_e32 v53, 0x3f575c64, v49
	v_fma_f32 v85, 0xbe11bafb, v27, -v80
	v_fmac_f32_e32 v80, 0xbe11bafb, v27
	v_fma_f32 v54, 0xbf27a4f4, v49, -v51
	v_fmac_f32_e32 v51, 0xbf27a4f4, v49
	v_fma_f32 v46, 0xbe11bafb, v49, -v48
	v_fmac_f32_e32 v48, 0xbe11bafb, v49
	v_add_f32_e32 v65, v65, v53
	v_fma_f32 v53, 0x3ed4b147, v49, -v52
	v_dual_add_f32 v63, v63, v54 :: v_dual_fmac_f32 v52, 0x3ed4b147, v49
	v_dual_mul_f32 v49, 0xbf0a6770, v44 :: v_dual_add_f32 v68, v55, v51
	s_delay_alu instid0(VALU_DEP_3) | instskip(SKIP_1) | instid1(VALU_DEP_4)
	v_add_f32_e32 v69, v56, v53
	v_add_f32_e32 v74, v36, v48
	;; [unrolled: 1-line block ×3, first 2 shown]
	v_mul_f32_e32 v52, 0xbf4178ce, v44
	v_fma_f32 v36, 0x3f575c64, v45, -v49
	v_dual_add_f32 v61, v61, v46 :: v_dual_mul_f32 v46, 0xbf68dda4, v44
	v_fmac_f32_e32 v49, 0x3f575c64, v45
	v_fma_f32 v53, 0xbf75a155, v45, -v42
	s_delay_alu instid0(VALU_DEP_4)
	v_add_f32_e32 v36, v36, v37
	v_fmac_f32_e32 v42, 0xbf75a155, v45
	v_fma_f32 v48, 0x3ed4b147, v45, -v46
	v_mul_f32_e32 v47, 0xbf7d64f0, v44
	v_add_f32_e32 v49, v49, v37
	v_fma_f32 v44, 0xbf27a4f4, v45, -v52
	s_delay_alu instid0(VALU_DEP_4) | instskip(NEXT) | instid1(VALU_DEP_4)
	v_dual_mul_f32 v43, 0xbf68dda4, v40 :: v_dual_add_f32 v48, v48, v37
	v_fma_f32 v51, 0xbe11bafb, v45, -v47
	v_fmac_f32_e32 v46, 0x3ed4b147, v45
	v_fmac_f32_e32 v47, 0xbe11bafb, v45
	v_add_f32_e32 v44, v44, v37
	s_delay_alu instid0(VALU_DEP_4) | instskip(SKIP_3) | instid1(VALU_DEP_3)
	v_dual_mul_f32 v54, 0xbf4178ce, v40 :: v_dual_add_f32 v51, v51, v37
	v_fmac_f32_e32 v52, 0xbf27a4f4, v45
	v_fma_f32 v45, 0x3ed4b147, v41, -v43
	v_fmac_f32_e32 v43, 0x3ed4b147, v41
	v_add_f32_e32 v52, v52, v37
	s_delay_alu instid0(VALU_DEP_3) | instskip(SKIP_1) | instid1(VALU_DEP_4)
	v_add_f32_e32 v36, v36, v45
	v_fma_f32 v45, 0xbf27a4f4, v41, -v54
	v_dual_add_f32 v43, v49, v43 :: v_dual_add_f32 v46, v46, v37
	v_mul_f32_e32 v49, 0x3f7d64f0, v40
	v_fmac_f32_e32 v54, 0xbf27a4f4, v41
	s_delay_alu instid0(VALU_DEP_1) | instskip(SKIP_3) | instid1(VALU_DEP_2)
	v_dual_add_f32 v46, v46, v54 :: v_dual_add_f32 v47, v47, v37
	v_add_f32_e32 v53, v53, v37
	v_dual_add_f32 v37, v42, v37 :: v_dual_mul_f32 v42, 0x3e903f40, v40
	v_mul_f32_e32 v40, 0x3f0a6770, v40
	v_fma_f32 v55, 0xbf75a155, v41, -v42
	s_delay_alu instid0(VALU_DEP_1) | instskip(NEXT) | instid1(VALU_DEP_1)
	v_dual_fmac_f32 v42, 0xbf75a155, v41 :: v_dual_add_f32 v51, v51, v55
	v_dual_add_f32 v42, v47, v42 :: v_dual_add_f32 v45, v48, v45
	v_fma_f32 v48, 0xbe11bafb, v41, -v49
	s_delay_alu instid0(VALU_DEP_1) | instskip(SKIP_4) | instid1(VALU_DEP_4)
	v_add_f32_e32 v38, v44, v48
	v_fma_f32 v44, 0x3f575c64, v41, -v40
	v_fmac_f32_e32 v40, 0x3f575c64, v41
	v_fma_f32 v48, 0xbe11bafb, v35, -v39
	v_fmac_f32_e32 v49, 0xbe11bafb, v41
	v_dual_fmac_f32 v39, 0xbe11bafb, v35 :: v_dual_add_f32 v44, v53, v44
	s_delay_alu instid0(VALU_DEP_4) | instskip(NEXT) | instid1(VALU_DEP_4)
	v_dual_add_f32 v37, v37, v40 :: v_dual_mul_f32 v40, 0x3f68dda4, v34
	v_add_f32_e32 v36, v36, v48
	s_delay_alu instid0(VALU_DEP_4) | instskip(NEXT) | instid1(VALU_DEP_4)
	v_add_f32_e32 v41, v52, v49
	v_add_f32_e32 v39, v43, v39
	s_delay_alu instid0(VALU_DEP_4) | instskip(SKIP_2) | instid1(VALU_DEP_2)
	v_fma_f32 v43, 0x3ed4b147, v35, -v40
	v_fmac_f32_e32 v40, 0x3ed4b147, v35
	v_mul_f32_e32 v47, 0x3e903f40, v34
	v_dual_add_f32 v43, v51, v43 :: v_dual_add_f32 v40, v42, v40
	s_delay_alu instid0(VALU_DEP_2) | instskip(SKIP_2) | instid1(VALU_DEP_2)
	v_fma_f32 v49, 0xbf75a155, v35, -v47
	v_fmac_f32_e32 v47, 0xbf75a155, v35
	v_mad_i32_i24 v51, 0xffffffd8, v2, v12
	v_dual_add_f32 v45, v45, v49 :: v_dual_add_f32 v46, v46, v47
	v_mul_f32_e32 v47, 0xbf0a6770, v34
	v_mul_f32_e32 v34, 0xbf4178ce, v34
	s_delay_alu instid0(VALU_DEP_4)
	v_add_nc_u32_e32 v55, 0x800, v51
	v_add_nc_u32_e32 v53, 0x200, v51
	;; [unrolled: 1-line block ×3, first 2 shown]
	v_fma_f32 v32, 0x3f575c64, v35, -v47
	v_fma_f32 v42, 0xbf27a4f4, v35, -v34
	v_fmac_f32_e32 v34, 0xbf27a4f4, v35
	v_add_nc_u32_e32 v54, 0x400, v51
	s_delay_alu instid0(VALU_DEP_4) | instskip(NEXT) | instid1(VALU_DEP_3)
	v_dual_add_f32 v32, v38, v32 :: v_dual_add_nc_u32 v59, 0xe00, v51
	v_dual_fmac_f32 v47, 0x3f575c64, v35 :: v_dual_add_f32 v34, v37, v34
	v_mul_f32_e32 v33, 0xbf4178ce, v30
	v_mul_f32_e32 v37, 0xbf0a6770, v30
	s_delay_alu instid0(VALU_DEP_3) | instskip(SKIP_1) | instid1(VALU_DEP_4)
	v_dual_add_f32 v35, v44, v42 :: v_dual_add_f32 v38, v41, v47
	v_mul_f32_e32 v42, 0x3f7d64f0, v30
	v_fma_f32 v41, 0xbf27a4f4, v31, -v33
	s_delay_alu instid0(VALU_DEP_1) | instskip(NEXT) | instid1(VALU_DEP_1)
	v_dual_fmac_f32 v33, 0xbf27a4f4, v31 :: v_dual_add_f32 v36, v36, v41
	v_add_f32_e32 v33, v39, v33
	v_fma_f32 v39, 0x3f575c64, v31, -v37
	v_mul_f32_e32 v44, 0xbe903f40, v30
	v_mul_f32_e32 v30, 0x3f68dda4, v30
	v_fma_f32 v41, 0xbe11bafb, v31, -v42
	v_fmac_f32_e32 v37, 0x3f575c64, v31
	v_add_f32_e32 v39, v43, v39
	v_fma_f32 v28, 0xbf75a155, v31, -v44
	v_mul_f32_e32 v29, 0xbe903f40, v26
	v_dual_add_f32 v41, v45, v41 :: v_dual_fmac_f32 v42, 0xbe11bafb, v31
	v_add_f32_e32 v37, v40, v37
	s_delay_alu instid0(VALU_DEP_4) | instskip(SKIP_4) | instid1(VALU_DEP_3)
	v_add_f32_e32 v28, v32, v28
	v_fma_f32 v32, 0x3ed4b147, v31, -v30
	v_fmac_f32_e32 v30, 0x3ed4b147, v31
	v_fmac_f32_e32 v44, 0xbf75a155, v31
	v_add_f32_e32 v42, v46, v42
	v_dual_add_f32 v52, v35, v32 :: v_dual_add_f32 v75, v34, v30
	s_delay_alu instid0(VALU_DEP_3) | instskip(SKIP_2) | instid1(VALU_DEP_4)
	v_add_f32_e32 v31, v38, v44
	v_fma_f32 v38, 0xbf75a155, v27, -v29
	v_fmac_f32_e32 v29, 0xbf75a155, v27
	v_dual_mul_f32 v40, 0x3f0a6770, v26 :: v_dual_add_f32 v85, v52, v85
	v_dual_add_f32 v75, v75, v80 :: v_dual_add_nc_u32 v56, 0x1000, v51
	s_delay_alu instid0(VALU_DEP_3) | instskip(SKIP_1) | instid1(VALU_DEP_4)
	v_add_f32_e32 v77, v33, v29
	v_mul_f32_e32 v29, 0x3f68dda4, v26
	v_fma_f32 v30, 0x3f575c64, v27, -v40
	v_add_nc_u32_e32 v52, 0x6e, v2
	s_delay_alu instid0(VALU_DEP_3) | instskip(SKIP_1) | instid1(VALU_DEP_2)
	v_fma_f32 v33, 0x3ed4b147, v27, -v29
	v_mul_f32_e32 v32, 0xbf4178ce, v26
	v_dual_add_f32 v78, v41, v30 :: v_dual_add_f32 v83, v28, v33
	s_delay_alu instid0(VALU_DEP_2) | instskip(SKIP_1) | instid1(VALU_DEP_2)
	v_fma_f32 v30, 0xbf27a4f4, v27, -v32
	v_fmac_f32_e32 v32, 0xbf27a4f4, v27
	v_dual_fmac_f32 v40, 0x3f575c64, v27 :: v_dual_add_f32 v81, v39, v30
	s_delay_alu instid0(VALU_DEP_2) | instskip(NEXT) | instid1(VALU_DEP_2)
	v_dual_add_f32 v82, v37, v32 :: v_dual_fmac_f32 v29, 0x3ed4b147, v27
	v_dual_add_f32 v76, v36, v38 :: v_dual_add_f32 v79, v42, v40
	s_delay_alu instid0(VALU_DEP_2)
	v_add_f32_e32 v84, v31, v29
	ds_load_2addr_b32 v[28:29], v51 offset1:55
	ds_load_2addr_b32 v[26:27], v53 offset0:92 offset1:147
	ds_load_2addr_b32 v[46:47], v55 offset0:38 offset1:93
	ds_load_2addr_b32 v[48:49], v57 offset0:2 offset1:57
	ds_load_2addr_b32 v[34:35], v56 offset0:76 offset1:131
	ds_load_2addr_b32 v[44:45], v54 offset0:74 offset1:129
	ds_load_2addr_b32 v[42:43], v57 offset0:112 offset1:167
	ds_load_2addr_b32 v[30:31], v51 offset0:110 offset1:165
	ds_load_2addr_b32 v[36:37], v55 offset0:148 offset1:203
	ds_load_2addr_b32 v[32:33], v56 offset0:186 offset1:241
	ds_load_2addr_b32 v[40:41], v54 offset0:184 offset1:239
	ds_load_2addr_b32 v[38:39], v59 offset0:94 offset1:149
	ds_load_b32 v62, v51 offset:5280
	global_wb scope:SCOPE_SE
	s_wait_dscnt 0x0
	s_barrier_signal -1
	s_barrier_wait -1
	global_inv scope:SCOPE_SE
	ds_store_2addr_b32 v12, v3, v64 offset1:1
	ds_store_2addr_b32 v12, v67, v63 offset0:2 offset1:3
	ds_store_2addr_b32 v12, v69, v61 offset0:4 offset1:5
	;; [unrolled: 1-line block ×4, first 2 shown]
	ds_store_b32 v12, v66 offset:40
	ds_store_2addr_b32 v70, v78, v81 offset1:1
	ds_store_2addr_b32 v71, v83, v85 offset1:1
	;; [unrolled: 1-line block ×5, first 2 shown]
	ds_store_b32 v12, v77 offset:2460
	s_and_saveexec_b32 s1, s0
	s_cbranch_execz .LBB0_17
; %bb.16:
	v_dual_add_f32 v3, v13, v25 :: v_dual_sub_f32 v12, v24, v18
	v_sub_f32_e32 v20, v22, v20
	v_add_f32_e32 v18, v25, v19
	v_add_f32_e32 v24, v23, v21
	s_delay_alu instid0(VALU_DEP_4) | instskip(SKIP_3) | instid1(VALU_DEP_4)
	v_add_f32_e32 v3, v3, v23
	v_mul_f32_e32 v25, 0xbf7d64f0, v12
	v_mul_f32_e32 v22, 0xbf0a6770, v12
	v_dual_mul_f32 v23, 0xbf68dda4, v12 :: v_dual_sub_f32 v4, v4, v6
	v_dual_add_f32 v3, v3, v15 :: v_dual_mul_f32 v50, 0xbf4178ce, v12
	s_delay_alu instid0(VALU_DEP_3) | instskip(SKIP_1) | instid1(VALU_DEP_4)
	v_fma_f32 v63, 0x3f575c64, v18, -v22
	v_fmac_f32_e32 v22, 0x3f575c64, v18
	v_fma_f32 v64, 0x3ed4b147, v18, -v23
	s_delay_alu instid0(VALU_DEP_4) | instskip(SKIP_2) | instid1(VALU_DEP_4)
	v_dual_add_f32 v3, v3, v9 :: v_dual_mul_f32 v12, 0xbe903f40, v12
	v_fma_f32 v66, 0xbf27a4f4, v18, -v50
	v_fma_f32 v65, 0xbe11bafb, v18, -v25
	v_dual_fmac_f32 v25, 0xbe11bafb, v18 :: v_dual_add_f32 v64, v13, v64
	s_delay_alu instid0(VALU_DEP_4) | instskip(SKIP_3) | instid1(VALU_DEP_4)
	v_dual_add_f32 v3, v3, v5 :: v_dual_mul_f32 v58, 0xbf68dda4, v20
	v_fma_f32 v67, 0xbf75a155, v18, -v12
	v_add_f32_e32 v63, v13, v63
	v_dual_mul_f32 v61, 0x3e903f40, v20 :: v_dual_add_f32 v22, v13, v22
	v_dual_add_f32 v3, v3, v7 :: v_dual_mul_f32 v60, 0xbf4178ce, v20
	v_fmac_f32_e32 v23, 0x3ed4b147, v18
	v_dual_fmac_f32 v12, 0xbf75a155, v18 :: v_dual_add_f32 v15, v15, v17
	s_delay_alu instid0(VALU_DEP_3) | instskip(SKIP_3) | instid1(VALU_DEP_4)
	v_dual_add_f32 v3, v11, v3 :: v_dual_fmac_f32 v50, 0xbf27a4f4, v18
	v_fma_f32 v18, 0x3ed4b147, v24, -v58
	v_fmac_f32_e32 v58, 0x3ed4b147, v24
	v_fma_f32 v68, 0xbf27a4f4, v24, -v60
	v_add_f32_e32 v3, v17, v3
	v_add_f32_e32 v23, v13, v23
	v_dual_add_f32 v65, v13, v65 :: v_dual_fmac_f32 v60, 0xbf27a4f4, v24
	v_add_f32_e32 v25, v13, v25
	s_delay_alu instid0(VALU_DEP_4)
	v_add_f32_e32 v3, v21, v3
	v_add_f32_e32 v66, v13, v66
	;; [unrolled: 1-line block ×4, first 2 shown]
	v_dual_add_f32 v12, v13, v12 :: v_dual_add_f32 v13, v63, v18
	v_add_f32_e32 v18, v22, v58
	v_dual_add_f32 v22, v64, v68 :: v_dual_add_f32 v3, v19, v3
	v_fma_f32 v19, 0xbf75a155, v24, -v61
	v_mul_f32_e32 v58, 0x3f7d64f0, v20
	v_sub_f32_e32 v14, v14, v16
	v_mul_f32_e32 v16, 0x3f0a6770, v20
	v_add_f32_e32 v23, v23, v60
	v_add_f32_e32 v19, v65, v19
	v_fma_f32 v20, 0xbe11bafb, v24, -v58
	v_mul_f32_e32 v17, 0xbf7d64f0, v14
	v_dual_fmac_f32 v58, 0xbe11bafb, v24 :: v_dual_add_f32 v9, v9, v11
	s_delay_alu instid0(VALU_DEP_3) | instskip(SKIP_1) | instid1(VALU_DEP_3)
	v_dual_add_f32 v5, v5, v7 :: v_dual_add_f32 v20, v66, v20
	v_mul_f32_e32 v7, 0xbe903f40, v4
	v_add_f32_e32 v21, v21, v58
	v_fma_f32 v60, 0x3f575c64, v24, -v16
	v_fmac_f32_e32 v16, 0x3f575c64, v24
	v_mul_f32_e32 v58, 0x3e903f40, v14
	v_fmac_f32_e32 v61, 0xbf75a155, v24
	s_delay_alu instid0(VALU_DEP_4) | instskip(SKIP_2) | instid1(VALU_DEP_2)
	v_add_f32_e32 v50, v50, v60
	v_fma_f32 v24, 0xbe11bafb, v15, -v17
	v_fmac_f32_e32 v17, 0xbe11bafb, v15
	v_add_f32_e32 v13, v13, v24
	v_fma_f32 v24, 0xbf75a155, v15, -v58
	s_delay_alu instid0(VALU_DEP_3) | instskip(SKIP_3) | instid1(VALU_DEP_4)
	v_dual_add_f32 v17, v18, v17 :: v_dual_fmac_f32 v58, 0xbf75a155, v15
	v_add_f32_e32 v12, v12, v16
	v_mul_f32_e32 v16, 0x3f68dda4, v14
	v_dual_sub_f32 v8, v8, v10 :: v_dual_add_f32 v25, v25, v61
	v_dual_add_f32 v22, v22, v24 :: v_dual_add_f32 v23, v23, v58
	s_delay_alu instid0(VALU_DEP_3) | instskip(SKIP_1) | instid1(VALU_DEP_4)
	v_fma_f32 v60, 0x3ed4b147, v15, -v16
	v_mul_f32_e32 v18, 0xbf0a6770, v14
	v_dual_mul_f32 v14, 0xbf4178ce, v14 :: v_dual_mul_f32 v11, 0xbf4178ce, v8
	s_delay_alu instid0(VALU_DEP_3) | instskip(NEXT) | instid1(VALU_DEP_3)
	v_add_f32_e32 v19, v19, v60
	v_fma_f32 v24, 0x3f575c64, v15, -v18
	v_fmac_f32_e32 v18, 0x3f575c64, v15
	v_fmac_f32_e32 v16, 0x3ed4b147, v15
	s_delay_alu instid0(VALU_DEP_3) | instskip(SKIP_1) | instid1(VALU_DEP_4)
	v_add_f32_e32 v10, v20, v24
	v_fma_f32 v20, 0xbf27a4f4, v15, -v14
	v_dual_fmac_f32 v14, 0xbf27a4f4, v15 :: v_dual_add_f32 v15, v21, v18
	v_fma_f32 v21, 0xbf27a4f4, v9, -v11
	v_dual_add_f32 v16, v25, v16 :: v_dual_fmac_f32 v11, 0xbf27a4f4, v9
	s_delay_alu instid0(VALU_DEP_4) | instskip(NEXT) | instid1(VALU_DEP_3)
	v_add_f32_e32 v18, v50, v20
	v_dual_add_f32 v12, v12, v14 :: v_dual_add_f32 v13, v13, v21
	v_mul_f32_e32 v20, 0x3f7d64f0, v8
	s_delay_alu instid0(VALU_DEP_4) | instskip(NEXT) | instid1(VALU_DEP_2)
	v_dual_mul_f32 v14, 0xbf0a6770, v8 :: v_dual_add_f32 v11, v17, v11
	v_fma_f32 v24, 0xbe11bafb, v9, -v20
	s_delay_alu instid0(VALU_DEP_2) | instskip(NEXT) | instid1(VALU_DEP_2)
	v_fma_f32 v17, 0x3f575c64, v9, -v14
	v_dual_fmac_f32 v20, 0xbe11bafb, v9 :: v_dual_add_f32 v21, v22, v24
	v_fmac_f32_e32 v14, 0x3f575c64, v9
	v_mul_f32_e32 v22, 0xbe903f40, v8
	s_delay_alu instid0(VALU_DEP_4) | instskip(NEXT) | instid1(VALU_DEP_3)
	v_dual_mul_f32 v8, 0x3f68dda4, v8 :: v_dual_add_f32 v17, v19, v17
	v_add_f32_e32 v14, v16, v14
	s_delay_alu instid0(VALU_DEP_3) | instskip(SKIP_1) | instid1(VALU_DEP_4)
	v_fma_f32 v6, 0xbf75a155, v9, -v22
	v_fmac_f32_e32 v22, 0xbf75a155, v9
	v_fma_f32 v16, 0x3ed4b147, v9, -v8
	v_fmac_f32_e32 v8, 0x3ed4b147, v9
	s_delay_alu instid0(VALU_DEP_4) | instskip(NEXT) | instid1(VALU_DEP_4)
	v_add_f32_e32 v6, v10, v6
	v_add_f32_e32 v9, v15, v22
	v_fma_f32 v15, 0xbf75a155, v5, -v7
	s_delay_alu instid0(VALU_DEP_4) | instskip(SKIP_2) | instid1(VALU_DEP_3)
	v_dual_fmac_f32 v7, 0xbf75a155, v5 :: v_dual_add_f32 v8, v12, v8
	v_mul_f32_e32 v12, 0xbf4178ce, v4
	v_add_f32_e32 v10, v18, v16
	v_dual_mul_f32 v18, 0x3f68dda4, v4 :: v_dual_add_f32 v7, v11, v7
	v_mul_f32_e32 v16, 0x3f0a6770, v4
	s_delay_alu instid0(VALU_DEP_4) | instskip(SKIP_2) | instid1(VALU_DEP_4)
	v_fma_f32 v11, 0xbf27a4f4, v5, -v12
	v_mul_f32_e32 v4, 0xbf7d64f0, v4
	v_dual_add_f32 v20, v23, v20 :: v_dual_add_f32 v13, v13, v15
	v_fma_f32 v15, 0x3f575c64, v5, -v16
	s_delay_alu instid0(VALU_DEP_4)
	v_add_f32_e32 v11, v17, v11
	v_fma_f32 v17, 0x3ed4b147, v5, -v18
	v_fma_f32 v19, 0xbe11bafb, v5, -v4
	v_fmac_f32_e32 v18, 0x3ed4b147, v5
	v_fmac_f32_e32 v4, 0xbe11bafb, v5
	;; [unrolled: 1-line block ×4, first 2 shown]
	v_add_f32_e32 v5, v6, v17
	v_mad_u32_u24 v6, v52, 44, 0
	v_add_f32_e32 v15, v21, v15
	v_dual_add_f32 v10, v10, v19 :: v_dual_add_f32 v9, v9, v18
	v_add_f32_e32 v4, v8, v4
	v_add_f32_e32 v16, v20, v16
	;; [unrolled: 1-line block ×3, first 2 shown]
	ds_store_2addr_b32 v6, v3, v13 offset1:1
	ds_store_2addr_b32 v6, v15, v11 offset0:2 offset1:3
	ds_store_2addr_b32 v6, v5, v10 offset0:4 offset1:5
	;; [unrolled: 1-line block ×4, first 2 shown]
	ds_store_b32 v6, v7 offset:40
.LBB0_17:
	s_wait_alu 0xfffe
	s_or_b32 exec_lo, exec_lo, s1
	v_and_b32_e32 v3, 0xff, v2
	v_add_nc_u32_e32 v50, 0xdc, v2
	global_wb scope:SCOPE_SE
	s_wait_dscnt 0x0
	s_barrier_signal -1
	s_barrier_wait -1
	v_mul_lo_u16 v3, 0x75, v3
	v_and_b32_e32 v14, 0xffff, v50
	global_inv scope:SCOPE_SE
	v_lshrrev_b16 v3, 8, v3
	v_mul_u32_u24_e32 v4, 0xba2f, v14
	s_delay_alu instid0(VALU_DEP_2) | instskip(NEXT) | instid1(VALU_DEP_2)
	v_sub_nc_u16 v5, v2, v3
	v_lshrrev_b32_e32 v7, 19, v4
	s_delay_alu instid0(VALU_DEP_2) | instskip(NEXT) | instid1(VALU_DEP_2)
	v_lshrrev_b16 v4, 1, v5
	v_mul_lo_u16 v5, v7, 11
	v_mul_u32_u24_e32 v7, 0xdc, v7
	s_delay_alu instid0(VALU_DEP_3) | instskip(NEXT) | instid1(VALU_DEP_3)
	v_and_b32_e32 v4, 0x7f, v4
	v_sub_nc_u16 v5, v50, v5
	s_delay_alu instid0(VALU_DEP_2) | instskip(NEXT) | instid1(VALU_DEP_2)
	v_add_nc_u16 v3, v4, v3
	v_and_b32_e32 v113, 0xffff, v5
	s_delay_alu instid0(VALU_DEP_2) | instskip(NEXT) | instid1(VALU_DEP_2)
	v_lshrrev_b16 v8, 3, v3
	v_lshlrev_b32_e32 v3, 5, v113
	s_clause 0x1
	global_load_b128 v[17:20], v3, s[4:5]
	global_load_b128 v[63:66], v3, s[4:5] offset:16
	v_add_nc_u32_e32 v58, 55, v2
	v_and_b32_e32 v16, 0xff, v52
	s_delay_alu instid0(VALU_DEP_2) | instskip(NEXT) | instid1(VALU_DEP_2)
	v_and_b32_e32 v6, 0xff, v58
	v_mul_lo_u16 v9, 0x75, v16
	s_delay_alu instid0(VALU_DEP_2) | instskip(NEXT) | instid1(VALU_DEP_1)
	v_mul_lo_u16 v6, 0x75, v6
	v_lshrrev_b16 v4, 8, v6
	v_mul_lo_u16 v6, v8, 11
	v_and_b32_e32 v8, 0xffff, v8
	s_delay_alu instid0(VALU_DEP_3) | instskip(NEXT) | instid1(VALU_DEP_3)
	v_sub_nc_u16 v5, v58, v4
	v_sub_nc_u16 v6, v2, v6
	s_delay_alu instid0(VALU_DEP_3) | instskip(NEXT) | instid1(VALU_DEP_3)
	v_mul_u32_u24_e32 v8, 0xdc, v8
	v_lshrrev_b16 v5, 1, v5
	s_delay_alu instid0(VALU_DEP_3) | instskip(NEXT) | instid1(VALU_DEP_2)
	v_and_b32_e32 v114, 0xff, v6
	v_and_b32_e32 v3, 0x7f, v5
	v_lshrrev_b16 v5, 8, v9
	s_delay_alu instid0(VALU_DEP_2) | instskip(NEXT) | instid1(VALU_DEP_4)
	v_add_nc_u16 v3, v3, v4
	v_lshlrev_b32_e32 v4, 5, v114
	s_delay_alu instid0(VALU_DEP_3) | instskip(NEXT) | instid1(VALU_DEP_3)
	v_sub_nc_u16 v6, v52, v5
	v_lshrrev_b16 v9, 3, v3
	s_clause 0x1
	global_load_b128 v[67:70], v4, s[4:5]
	global_load_b128 v[71:74], v4, s[4:5] offset:16
	v_add_nc_u32_e32 v60, 0xa5, v2
	v_lshrrev_b16 v3, 1, v6
	v_mul_lo_u16 v6, v9, 11
	v_and_b32_e32 v9, 0xffff, v9
	s_delay_alu instid0(VALU_DEP_4) | instskip(NEXT) | instid1(VALU_DEP_4)
	v_and_b32_e32 v15, 0xff, v60
	v_and_b32_e32 v3, 0x7f, v3
	s_delay_alu instid0(VALU_DEP_4) | instskip(NEXT) | instid1(VALU_DEP_3)
	v_sub_nc_u16 v6, v58, v6
	v_mul_lo_u16 v10, 0x75, v15
	s_delay_alu instid0(VALU_DEP_3) | instskip(NEXT) | instid1(VALU_DEP_3)
	v_add_nc_u16 v3, v3, v5
	v_and_b32_e32 v115, 0xff, v6
	s_delay_alu instid0(VALU_DEP_3) | instskip(NEXT) | instid1(VALU_DEP_3)
	v_lshrrev_b16 v4, 8, v10
	v_lshrrev_b16 v10, 3, v3
	s_delay_alu instid0(VALU_DEP_3) | instskip(NEXT) | instid1(VALU_DEP_3)
	v_lshlrev_b32_e32 v3, 5, v115
	v_sub_nc_u16 v5, v60, v4
	s_delay_alu instid0(VALU_DEP_3)
	v_mul_lo_u16 v6, v10, 11
	s_clause 0x1
	global_load_b128 v[75:78], v3, s[4:5]
	global_load_b128 v[87:90], v3, s[4:5] offset:16
	v_lshrrev_b16 v5, 1, v5
	v_sub_nc_u16 v6, v52, v6
	s_delay_alu instid0(VALU_DEP_2) | instskip(NEXT) | instid1(VALU_DEP_2)
	v_and_b32_e32 v5, 0x7f, v5
	v_and_b32_e32 v116, 0xff, v6
	s_delay_alu instid0(VALU_DEP_2) | instskip(NEXT) | instid1(VALU_DEP_2)
	v_add_nc_u16 v4, v5, v4
	v_lshlrev_b32_e32 v5, 5, v116
	s_delay_alu instid0(VALU_DEP_2) | instskip(SKIP_4) | instid1(VALU_DEP_1)
	v_lshrrev_b16 v11, 3, v4
	s_clause 0x1
	global_load_b128 v[79:82], v5, s[4:5]
	global_load_b128 v[83:86], v5, s[4:5] offset:16
	v_mul_lo_u16 v4, v11, 11
	v_sub_nc_u16 v4, v60, v4
	s_delay_alu instid0(VALU_DEP_1) | instskip(NEXT) | instid1(VALU_DEP_1)
	v_and_b32_e32 v117, 0xff, v4
	v_lshlrev_b32_e32 v3, 5, v117
	s_clause 0x1
	global_load_b128 v[91:94], v3, s[4:5]
	global_load_b128 v[95:98], v3, s[4:5] offset:16
	ds_load_2addr_b32 v[99:100], v54 offset0:184 offset1:239
	ds_load_2addr_b32 v[101:102], v57 offset0:2 offset1:57
	;; [unrolled: 1-line block ×3, first 2 shown]
	ds_load_b32 v118, v51 offset:5280
	ds_load_2addr_b32 v[3:4], v51 offset1:55
	ds_load_2addr_b32 v[5:6], v53 offset0:92 offset1:147
	ds_load_2addr_b32 v[105:106], v55 offset0:38 offset1:93
	;; [unrolled: 1-line block ×5, first 2 shown]
	s_wait_loadcnt_dscnt 0x909
	v_mul_f32_e32 v61, v100, v18
	v_mul_f32_e32 v12, v41, v18
	s_wait_dscnt 0x8
	v_mul_f32_e32 v23, v101, v20
	s_wait_loadcnt_dscnt 0x807
	v_mul_f32_e32 v24, v104, v64
	v_dual_mul_f32 v18, v39, v64 :: v_dual_fmac_f32 v61, v41, v17
	v_fma_f32 v21, v100, v17, -v12
	v_mul_f32_e32 v17, v62, v66
	v_mul_f32_e32 v13, v48, v20
	v_fmac_f32_e32 v23, v48, v19
	s_wait_dscnt 0x6
	v_dual_mul_f32 v41, v118, v66 :: v_dual_fmac_f32 v24, v39, v63
	v_fma_f32 v25, v104, v63, -v18
	v_fma_f32 v39, v118, v65, -v17
	;; [unrolled: 1-line block ×3, first 2 shown]
	s_delay_alu instid0(VALU_DEP_4)
	v_fmac_f32_e32 v41, v62, v65
	ds_load_2addr_b32 v[62:63], v55 offset0:148 offset1:203
	ds_load_2addr_b32 v[64:65], v56 offset0:186 offset1:241
	;; [unrolled: 1-line block ×3, first 2 shown]
	v_add_f32_e32 v100, v22, v25
	global_wb scope:SCOPE_SE
	s_wait_loadcnt_dscnt 0x0
	s_barrier_signal -1
	s_barrier_wait -1
	global_inv scope:SCOPE_SE
	v_mul_f32_e32 v48, v6, v68
	v_dual_mul_f32 v17, v27, v68 :: v_dual_mul_f32 v66, v105, v70
	v_mul_f32_e32 v18, v46, v70
	v_mul_f32_e32 v68, v102, v72
	s_delay_alu instid0(VALU_DEP_4) | instskip(NEXT) | instid1(VALU_DEP_4)
	v_fmac_f32_e32 v48, v27, v67
	v_fma_f32 v27, v6, v67, -v17
	v_lshlrev_b32_e32 v6, 2, v113
	v_fmac_f32_e32 v66, v46, v69
	v_fma_f32 v67, v105, v69, -v18
	v_mul_f32_e32 v69, v49, v72
	v_fmac_f32_e32 v68, v49, v71
	v_mul_f32_e32 v46, v107, v74
	v_mul_f32_e32 v49, v34, v74
	v_sub_f32_e32 v74, v22, v25
	v_fma_f32 v69, v102, v71, -v69
	v_add_f32_e32 v71, v23, v24
	v_lshlrev_b32_e32 v18, 2, v116
	v_fmac_f32_e32 v46, v34, v73
	v_fma_f32 v34, v107, v73, -v49
	v_dual_add_f32 v70, v26, v61 :: v_dual_lshlrev_b32 v19, 2, v115
	v_fma_f32 v71, -0.5, v71, v26
	v_dual_sub_f32 v72, v21, v39 :: v_dual_lshlrev_b32 v17, 2, v117
	v_mul_f32_e32 v49, v106, v78
	v_lshlrev_b32_e32 v20, 2, v114
	v_dual_mul_f32 v73, v47, v78 :: v_dual_add_f32 v70, v70, v23
	v_add3_u32 v6, 0, v7, v6
	s_delay_alu instid0(VALU_DEP_4) | instskip(SKIP_4) | instid1(VALU_DEP_4)
	v_fmac_f32_e32 v49, v47, v77
	v_mul_f32_e32 v47, v109, v76
	v_mul_f32_e32 v76, v44, v76
	v_fma_f32 v73, v106, v77, -v73
	v_sub_f32_e32 v77, v61, v23
	v_dual_sub_f32 v78, v41, v24 :: v_dual_fmac_f32 v47, v44, v75
	s_delay_alu instid0(VALU_DEP_4) | instskip(SKIP_2) | instid1(VALU_DEP_4)
	v_fma_f32 v44, v109, v75, -v76
	v_add_f32_e32 v75, v61, v41
	v_add_f32_e32 v76, v5, v21
	;; [unrolled: 1-line block ×3, first 2 shown]
	v_add3_u32 v20, 0, v8, v20
	v_mul_u32_u24_e32 v8, 0xdc, v9
	v_dual_fmac_f32 v26, -0.5, v75 :: v_dual_mul_f32 v101, v110, v80
	v_dual_mul_f32 v75, v45, v80 :: v_dual_mul_f32 v78, v62, v82
	v_dual_mul_f32 v80, v112, v84 :: v_dual_and_b32 v9, 0xffff, v10
	s_delay_alu instid0(VALU_DEP_3) | instskip(SKIP_1) | instid1(VALU_DEP_4)
	v_fmac_f32_e32 v101, v45, v79
	v_mul_f32_e32 v45, v36, v82
	v_fma_f32 v75, v110, v79, -v75
	v_dual_mul_f32 v79, v43, v84 :: v_dual_mul_f32 v82, v64, v86
	v_fmac_f32_e32 v78, v36, v81
	s_delay_alu instid0(VALU_DEP_4)
	v_fma_f32 v36, v62, v81, -v45
	v_dual_mul_f32 v45, v32, v86 :: v_dual_mul_f32 v84, v42, v88
	v_add_f32_e32 v62, v70, v24
	v_dual_fmamk_f32 v70, v72, 0xbf737871, v71 :: v_dual_mul_f32 v81, v111, v88
	v_fmac_f32_e32 v80, v43, v83
	v_fmac_f32_e32 v82, v32, v85
	v_fma_f32 v32, v64, v85, -v45
	v_mul_f32_e32 v45, v108, v90
	v_fmac_f32_e32 v71, 0x3f737871, v72
	v_fma_f32 v43, v112, v83, -v79
	v_mul_f32_e32 v79, v99, v92
	v_dual_mul_f32 v64, v35, v90 :: v_dual_mul_f32 v83, v40, v92
	v_dual_fmac_f32 v81, v42, v87 :: v_dual_mul_f32 v42, v63, v94
	v_dual_mul_f32 v85, v37, v94 :: v_dual_mul_f32 v86, v103, v96
	v_fma_f32 v84, v111, v87, -v84
	v_dual_mul_f32 v87, v38, v96 :: v_dual_mul_f32 v88, v33, v98
	v_dual_fmac_f32 v45, v35, v89 :: v_dual_fmac_f32 v70, 0xbf167918, v74
	s_delay_alu instid0(VALU_DEP_4)
	v_dual_mul_f32 v35, v65, v98 :: v_dual_fmac_f32 v86, v38, v95
	v_dual_fmac_f32 v71, 0x3f167918, v74 :: v_dual_fmac_f32 v42, v37, v93
	v_fmac_f32_e32 v79, v40, v91
	v_fma_f32 v40, v99, v91, -v83
	v_fma_f32 v37, v63, v93, -v85
	;; [unrolled: 1-line block ×3, first 2 shown]
	v_dual_fmac_f32 v35, v33, v97 :: v_dual_sub_f32 v90, v66, v48
	v_fma_f32 v33, v65, v97, -v88
	v_dual_add_f32 v63, v28, v48 :: v_dual_add_f32 v92, v3, v27
	v_dual_add_f32 v65, v66, v68 :: v_dual_sub_f32 v98, v69, v34
	v_dual_sub_f32 v87, v48, v66 :: v_dual_sub_f32 v96, v34, v69
	v_dual_sub_f32 v88, v46, v68 :: v_dual_sub_f32 v91, v68, v46
	;; [unrolled: 1-line block ×3, first 2 shown]
	v_dual_fmac_f32 v70, 0x3e9e377a, v77 :: v_dual_sub_f32 v97, v67, v27
	v_fma_f32 v64, v108, v89, -v64
	v_dual_sub_f32 v83, v27, v34 :: v_dual_sub_f32 v94, v66, v68
	v_dual_add_f32 v89, v48, v46 :: v_dual_sub_f32 v106, v78, v101
	v_dual_add_f32 v93, v67, v69 :: v_dual_sub_f32 v104, v101, v78
	v_dual_add_f32 v99, v30, v101 :: v_dual_add_f32 v108, v12, v75
	v_dual_sub_f32 v103, v36, v43 :: v_dual_sub_f32 v114, v43, v32
	v_dual_sub_f32 v105, v82, v80 :: v_dual_sub_f32 v112, v32, v43
	v_sub_f32_e32 v107, v80, v82
	v_add_f32_e32 v109, v36, v43
	v_sub_f32_e32 v111, v75, v36
	v_sub_f32_e32 v113, v36, v75
	v_fmac_f32_e32 v71, 0x3e9e377a, v77
	v_dual_add_f32 v63, v63, v66 :: v_dual_add_f32 v104, v104, v105
	v_dual_add_f32 v66, v87, v88 :: v_dual_add_f32 v77, v90, v91
	;; [unrolled: 1-line block ×3, first 2 shown]
	v_add_f32_e32 v88, v97, v98
	v_dual_add_f32 v91, v49, v81 :: v_dual_add_f32 v36, v108, v36
	v_dual_add_f32 v96, v47, v45 :: v_dual_sub_f32 v97, v49, v47
	v_sub_f32_e32 v98, v81, v45
	v_dual_sub_f32 v85, v67, v69 :: v_dual_add_f32 v102, v78, v80
	v_add_f32_e32 v67, v92, v67
	v_add_f32_e32 v90, v29, v47
	v_sub_f32_e32 v92, v47, v49
	v_dual_sub_f32 v95, v45, v81 :: v_dual_sub_f32 v108, v64, v84
	v_dual_add_f32 v78, v99, v78 :: v_dual_add_f32 v99, v4, v44
	s_delay_alu instid0(VALU_DEP_2)
	v_dual_add_f32 v105, v73, v84 :: v_dual_add_f32 v92, v92, v95
	v_sub_f32_e32 v107, v44, v73
	v_add_f32_e32 v111, v111, v112
	v_dual_add_f32 v112, v44, v64 :: v_dual_add_f32 v113, v113, v114
	v_sub_f32_e32 v114, v73, v44
	v_add_f32_e32 v63, v63, v68
	v_sub_f32_e32 v68, v84, v64
	v_fma_f32 v91, -0.5, v91, v29
	v_dual_fmac_f32 v29, -0.5, v96 :: v_dual_sub_f32 v96, v79, v42
	v_dual_add_f32 v97, v97, v98 :: v_dual_add_f32 v78, v78, v80
	v_sub_f32_e32 v98, v35, v86
	v_add_f32_e32 v67, v67, v69
	v_dual_add_f32 v69, v31, v79 :: v_dual_add_f32 v68, v114, v68
	v_add_f32_e32 v95, v42, v86
	v_dual_add_f32 v107, v107, v108 :: v_dual_add_f32 v36, v36, v43
	v_add_f32_e32 v108, v79, v35
	v_fma_f32 v105, -0.5, v105, v4
	v_fmac_f32_e32 v4, -0.5, v112
	v_sub_f32_e32 v112, v42, v79
	v_dual_sub_f32 v114, v86, v35 :: v_dual_sub_f32 v43, v40, v37
	v_add_f32_e32 v96, v96, v98
	v_sub_f32_e32 v98, v33, v38
	v_add_f32_e32 v80, v37, v38
	v_fma_f32 v95, -0.5, v95, v31
	v_dual_fmac_f32 v31, -0.5, v108 :: v_dual_add_f32 v108, v40, v33
	s_delay_alu instid0(VALU_DEP_4)
	v_add_f32_e32 v43, v43, v98
	v_add_f32_e32 v112, v112, v114
	v_dual_add_f32 v114, v13, v40 :: v_dual_add_f32 v27, v27, v34
	v_fma_f32 v65, -0.5, v65, v28
	v_sub_f32_e32 v98, v37, v40
	v_fma_f32 v115, -0.5, v80, v13
	v_sub_f32_e32 v80, v38, v33
	v_fma_f32 v28, -0.5, v89, v28
	v_fmamk_f32 v89, v83, 0xbf737871, v65
	v_fmac_f32_e32 v65, 0x3f737871, v83
	v_fma_f32 v93, -0.5, v93, v3
	v_fma_f32 v3, -0.5, v27, v3
	v_sub_f32_e32 v48, v48, v46
	v_dual_add_f32 v80, v98, v80 :: v_dual_fmac_f32 v89, 0xbf167918, v85
	v_dual_add_f32 v46, v63, v46 :: v_dual_fmac_f32 v65, 0x3f167918, v85
	v_fmamk_f32 v63, v85, 0x3f737871, v28
	v_fmac_f32_e32 v28, 0xbf737871, v85
	v_dual_fmamk_f32 v85, v74, 0x3f737871, v26 :: v_dual_add_f32 v34, v67, v34
	v_fmamk_f32 v67, v94, 0xbf737871, v3
	v_dual_fmac_f32 v3, 0x3f737871, v94 :: v_dual_sub_f32 v44, v44, v64
	v_dual_add_f32 v62, v62, v41 :: v_dual_fmac_f32 v63, 0xbf167918, v83
	v_fmamk_f32 v27, v48, 0x3f737871, v93
	v_fmac_f32_e32 v93, 0xbf737871, v48
	v_fmac_f32_e32 v67, 0x3f167918, v48
	v_dual_fmac_f32 v3, 0xbf167918, v48 :: v_dual_add_f32 v48, v101, v82
	s_delay_alu instid0(VALU_DEP_4)
	v_dual_fmac_f32 v28, 0x3f167918, v83 :: v_dual_fmac_f32 v27, 0x3f167918, v94
	v_dual_sub_f32 v83, v75, v32 :: v_dual_add_f32 v90, v90, v49
	v_add_f32_e32 v75, v75, v32
	v_dual_fmac_f32 v93, 0xbf167918, v94 :: v_dual_add_f32 v98, v99, v73
	v_fma_f32 v99, -0.5, v102, v30
	v_fma_f32 v30, -0.5, v48, v30
	v_add_f32_e32 v69, v69, v42
	v_sub_f32_e32 v42, v42, v86
	v_fma_f32 v102, -0.5, v75, v12
	v_sub_f32_e32 v94, v101, v82
	v_dual_sub_f32 v73, v73, v84 :: v_dual_sub_f32 v48, v79, v35
	v_sub_f32_e32 v47, v47, v45
	v_sub_f32_e32 v49, v49, v81
	v_fma_f32 v101, -0.5, v109, v12
	v_sub_f32_e32 v12, v40, v33
	v_dual_add_f32 v40, v114, v37 :: v_dual_sub_f32 v37, v37, v38
	v_add_f32_e32 v75, v90, v81
	v_dual_fmamk_f32 v79, v83, 0xbf737871, v99 :: v_dual_add_f32 v78, v78, v82
	v_dual_fmac_f32 v99, 0x3f737871, v83 :: v_dual_add_f32 v32, v36, v32
	v_dual_add_f32 v81, v98, v84 :: v_dual_fmamk_f32 v84, v103, 0x3f737871, v30
	v_fmac_f32_e32 v30, 0xbf737871, v103
	v_fmamk_f32 v98, v110, 0xbf737871, v102
	v_dual_fmac_f32 v102, 0x3f737871, v110 :: v_dual_fmac_f32 v13, -0.5, v108
	s_delay_alu instid0(VALU_DEP_4) | instskip(SKIP_2) | instid1(VALU_DEP_4)
	v_fmac_f32_e32 v84, 0xbf167918, v83
	v_fmamk_f32 v90, v94, 0x3f737871, v101
	v_fmac_f32_e32 v101, 0xbf737871, v94
	v_dual_fmac_f32 v79, 0xbf167918, v103 :: v_dual_fmac_f32 v102, 0xbf167918, v94
	s_delay_alu instid0(VALU_DEP_3)
	v_dual_fmac_f32 v99, 0x3f167918, v103 :: v_dual_fmac_f32 v90, 0x3f167918, v110
	v_dual_fmac_f32 v30, 0x3f167918, v83 :: v_dual_add_f32 v69, v69, v86
	v_dual_fmamk_f32 v82, v44, 0xbf737871, v91 :: v_dual_add_f32 v45, v75, v45
	v_fmac_f32_e32 v91, 0x3f737871, v44
	v_dual_fmamk_f32 v103, v47, 0x3f737871, v105 :: v_dual_add_f32 v38, v40, v38
	v_fmac_f32_e32 v98, 0x3f167918, v94
	v_fmamk_f32 v94, v49, 0xbf737871, v4
	v_fmac_f32_e32 v4, 0x3f737871, v49
	v_fmac_f32_e32 v91, 0x3f167918, v73
	v_dual_fmamk_f32 v83, v12, 0xbf737871, v95 :: v_dual_fmac_f32 v26, 0xbf737871, v74
	v_fmac_f32_e32 v95, 0x3f737871, v12
	v_fmamk_f32 v40, v37, 0x3f737871, v31
	v_fmac_f32_e32 v31, 0xbf737871, v37
	v_dual_fmamk_f32 v36, v73, 0x3f737871, v29 :: v_dual_add_f32 v33, v38, v33
	v_fmac_f32_e32 v105, 0xbf737871, v47
	v_dual_fmac_f32 v89, 0x3e9e377a, v66 :: v_dual_fmac_f32 v28, 0x3e9e377a, v77
	v_dual_fmac_f32 v65, 0x3e9e377a, v66 :: v_dual_fmac_f32 v90, 0x3e9e377a, v111
	v_dual_fmamk_f32 v66, v48, 0x3f737871, v115 :: v_dual_add_f32 v35, v69, v35
	v_fmamk_f32 v86, v42, 0xbf737871, v13
	v_dual_fmac_f32 v4, 0xbf167918, v47 :: v_dual_fmac_f32 v83, 0xbf167918, v37
	v_dual_fmac_f32 v31, 0x3f167918, v12 :: v_dual_add_f32 v38, v76, v22
	v_fmac_f32_e32 v95, 0x3f167918, v37
	v_dual_sub_f32 v37, v24, v41 :: v_dual_fmac_f32 v40, 0xbf167918, v12
	v_dual_sub_f32 v12, v23, v61 :: v_dual_fmac_f32 v115, 0xbf737871, v48
	v_dual_fmac_f32 v103, 0x3f167918, v49 :: v_dual_fmac_f32 v66, 0x3f167918, v42
	s_delay_alu instid0(VALU_DEP_2) | instskip(NEXT) | instid1(VALU_DEP_3)
	v_dual_fmac_f32 v79, 0x3e9e377a, v104 :: v_dual_add_f32 v12, v12, v37
	v_fmac_f32_e32 v115, 0xbf167918, v42
	s_delay_alu instid0(VALU_DEP_3) | instskip(SKIP_2) | instid1(VALU_DEP_4)
	v_dual_sub_f32 v41, v61, v41 :: v_dual_fmac_f32 v66, 0x3e9e377a, v43
	v_fmac_f32_e32 v13, 0x3f737871, v42
	v_fmac_f32_e32 v86, 0x3f167918, v48
	;; [unrolled: 1-line block ×3, first 2 shown]
	v_fma_f32 v42, -0.5, v100, v5
	v_dual_fmac_f32 v26, 0x3f167918, v72 :: v_dual_add_f32 v37, v38, v25
	v_add_f32_e32 v43, v21, v39
	s_delay_alu instid0(VALU_DEP_3) | instskip(SKIP_2) | instid1(VALU_DEP_4)
	v_dual_sub_f32 v23, v23, v24 :: v_dual_fmamk_f32 v38, v41, 0x3f737871, v42
	v_fmac_f32_e32 v42, 0xbf737871, v41
	v_fmac_f32_e32 v85, 0xbf167918, v72
	v_dual_fmac_f32 v26, 0x3e9e377a, v12 :: v_dual_fmac_f32 v5, -0.5, v43
	v_dual_fmac_f32 v99, 0x3e9e377a, v104 :: v_dual_add_f32 v24, v37, v39
	v_dual_fmac_f32 v38, 0x3f167918, v23 :: v_dual_sub_f32 v37, v39, v25
	v_fmac_f32_e32 v42, 0xbf167918, v23
	v_dual_fmac_f32 v85, 0x3e9e377a, v12 :: v_dual_sub_f32 v12, v21, v22
	v_fmac_f32_e32 v13, 0xbf167918, v48
	v_fmac_f32_e32 v91, 0x3e9e377a, v92
	;; [unrolled: 1-line block ×3, first 2 shown]
	v_add3_u32 v19, 0, v8, v19
	v_add_f32_e32 v12, v12, v37
	v_dual_sub_f32 v21, v22, v21 :: v_dual_sub_f32 v22, v25, v39
	v_and_b32_e32 v8, 0xffff, v11
	v_dual_fmac_f32 v36, 0xbf167918, v44 :: v_dual_fmac_f32 v105, 0xbf167918, v49
	s_delay_alu instid0(VALU_DEP_3)
	v_dual_fmac_f32 v42, 0x3e9e377a, v12 :: v_dual_add_f32 v21, v21, v22
	v_dual_fmac_f32 v29, 0x3f167918, v44 :: v_dual_fmac_f32 v94, 0x3f167918, v47
	v_mul_u32_u24_e32 v9, 0xdc, v9
	v_mul_u32_u24_e32 v8, 0xdc, v8
	v_dual_fmac_f32 v101, 0xbf167918, v110 :: v_dual_fmac_f32 v82, 0xbf167918, v73
	v_dual_fmac_f32 v63, 0x3e9e377a, v77 :: v_dual_fmac_f32 v84, 0x3e9e377a, v106
	;; [unrolled: 1-line block ×5, first 2 shown]
	v_add3_u32 v18, 0, v9, v18
	v_dual_fmac_f32 v67, 0x3e9e377a, v88 :: v_dual_fmac_f32 v102, 0x3e9e377a, v113
	v_fmac_f32_e32 v83, 0x3e9e377a, v96
	v_fmamk_f32 v43, v23, 0xbf737871, v5
	v_fmac_f32_e32 v5, 0x3f737871, v23
	v_add3_u32 v17, 0, v8, v17
	v_dual_fmac_f32 v93, 0x3e9e377a, v87 :: v_dual_fmac_f32 v98, 0x3e9e377a, v113
	v_dual_fmac_f32 v101, 0x3e9e377a, v111 :: v_dual_fmac_f32 v82, 0x3e9e377a, v92
	;; [unrolled: 1-line block ×3, first 2 shown]
	v_fmac_f32_e32 v31, 0x3e9e377a, v112
	v_dual_add_f32 v44, v81, v64 :: v_dual_fmac_f32 v103, 0x3e9e377a, v107
	v_fmac_f32_e32 v4, 0x3e9e377a, v68
	v_fmac_f32_e32 v95, 0x3e9e377a, v96
	;; [unrolled: 1-line block ×5, first 2 shown]
	ds_store_2addr_b32 v20, v46, v89 offset1:11
	ds_store_2addr_b32 v20, v63, v28 offset0:22 offset1:33
	ds_store_b32 v20, v65 offset:176
	ds_store_2addr_b32 v19, v45, v82 offset1:11
	ds_store_2addr_b32 v19, v36, v29 offset0:22 offset1:33
	ds_store_b32 v19, v91 offset:176
	;; [unrolled: 3-line block ×5, first 2 shown]
	global_wb scope:SCOPE_SE
	s_wait_dscnt 0x0
	s_barrier_signal -1
	s_barrier_wait -1
	global_inv scope:SCOPE_SE
	ds_load_2addr_b32 v[9:10], v51 offset1:55
	ds_load_2addr_b32 v[7:8], v53 offset0:92 offset1:147
	ds_load_2addr_b32 v[47:48], v55 offset0:38 offset1:93
	;; [unrolled: 1-line block ×11, first 2 shown]
	ds_load_b32 v49, v51 offset:5280
	global_wb scope:SCOPE_SE
	s_wait_dscnt 0x0
	s_barrier_signal -1
	s_barrier_wait -1
	global_inv scope:SCOPE_SE
	ds_store_2addr_b32 v20, v34, v27 offset1:11
	ds_store_2addr_b32 v20, v67, v3 offset0:22 offset1:33
	ds_store_b32 v20, v93 offset:176
	ds_store_2addr_b32 v19, v44, v103 offset1:11
	ds_store_2addr_b32 v19, v94, v4 offset0:22 offset1:33
	ds_store_b32 v19, v105 offset:176
	;; [unrolled: 3-line block ×3, first 2 shown]
	v_dual_mov_b32 v4, 0 :: v_dual_lshlrev_b32 v3, 2, v2
	v_fmac_f32_e32 v43, 0x3f167918, v41
	v_fmac_f32_e32 v5, 0xbf167918, v41
	ds_store_2addr_b32 v17, v33, v66 offset1:11
	ds_store_2addr_b32 v17, v86, v13 offset0:22 offset1:33
	ds_store_b32 v17, v115 offset:176
	ds_store_2addr_b32 v6, v24, v38 offset1:11
	v_mul_lo_u16 v13, 0x95, v16
	v_lshlrev_b64_e32 v[16:17], 3, v[3:4]
	v_fmac_f32_e32 v43, 0x3e9e377a, v21
	v_fmac_f32_e32 v5, 0x3e9e377a, v21
	ds_store_2addr_b32 v6, v43, v5 offset0:22 offset1:33
	ds_store_b32 v6, v42 offset:176
	v_add_co_u32 v5, s0, s4, v16
	s_wait_alu 0xf1ff
	v_add_co_ci_u32_e64 v6, s0, s5, v17, s0
	global_wb scope:SCOPE_SE
	s_wait_dscnt 0x0
	s_barrier_signal -1
	s_barrier_wait -1
	global_inv scope:SCOPE_SE
	s_clause 0x1
	global_load_b128 v[23:26], v[5:6], off offset:352
	global_load_b128 v[27:30], v[5:6], off offset:368
	v_lshrrev_b16 v3, 13, v13
	v_mul_u32_u24_e32 v13, 0x29e5, v14
	v_mul_lo_u16 v14, 0x95, v15
	s_delay_alu instid0(VALU_DEP_3) | instskip(NEXT) | instid1(VALU_DEP_3)
	v_mul_lo_u16 v3, v3, 55
	v_lshrrev_b32_e32 v13, 16, v13
	s_delay_alu instid0(VALU_DEP_3) | instskip(NEXT) | instid1(VALU_DEP_3)
	v_lshrrev_b16 v14, 13, v14
	v_sub_nc_u16 v3, v52, v3
	s_delay_alu instid0(VALU_DEP_3) | instskip(NEXT) | instid1(VALU_DEP_3)
	v_sub_nc_u16 v15, v50, v13
	v_mul_lo_u16 v14, v14, 55
	s_delay_alu instid0(VALU_DEP_3) | instskip(NEXT) | instid1(VALU_DEP_3)
	v_and_b32_e32 v3, 0xff, v3
	v_lshrrev_b16 v15, 1, v15
	s_delay_alu instid0(VALU_DEP_3) | instskip(NEXT) | instid1(VALU_DEP_3)
	v_sub_nc_u16 v14, v60, v14
	v_lshlrev_b32_e32 v16, 5, v3
	s_delay_alu instid0(VALU_DEP_3)
	v_add_nc_u16 v13, v15, v13
	s_clause 0x1
	global_load_b128 v[31:34], v16, s[4:5] offset:352
	global_load_b128 v[35:38], v16, s[4:5] offset:368
	v_lshrrev_b16 v15, 5, v13
	v_and_b32_e32 v13, 0xff, v14
	s_delay_alu instid0(VALU_DEP_2) | instskip(NEXT) | instid1(VALU_DEP_2)
	v_mul_lo_u16 v14, v15, 55
	v_lshlrev_b32_e32 v15, 5, v13
	s_delay_alu instid0(VALU_DEP_2)
	v_sub_nc_u16 v14, v50, v14
	s_clause 0x1
	global_load_b128 v[39:42], v15, s[4:5] offset:352
	global_load_b128 v[43:46], v15, s[4:5] offset:368
	s_wait_loadcnt 0x5
	v_dual_mul_f32 v103, v8, v24 :: v_dual_and_b32 v14, 0xffff, v14
	s_delay_alu instid0(VALU_DEP_1)
	v_lshlrev_b32_e32 v15, 5, v14
	s_clause 0x1
	global_load_b128 v[61:64], v15, s[4:5] offset:352
	global_load_b128 v[65:68], v15, s[4:5] offset:368
	ds_load_2addr_b32 v[17:18], v53 offset0:92 offset1:147
	ds_load_2addr_b32 v[15:16], v55 offset0:38 offset1:93
	;; [unrolled: 1-line block ×6, first 2 shown]
	ds_load_2addr_b32 v[21:22], v51 offset1:55
	ds_load_2addr_b32 v[19:20], v51 offset0:110 offset1:165
	ds_load_2addr_b32 v[93:94], v55 offset0:148 offset1:203
	;; [unrolled: 1-line block ×5, first 2 shown]
	ds_load_b32 v101, v51 offset:5280
	v_mul_f32_e32 v105, v47, v26
	s_wait_loadcnt 0x6
	v_mul_f32_e32 v109, v71, v30
	global_wb scope:SCOPE_SE
	s_wait_loadcnt_dscnt 0x0
	s_barrier_signal -1
	s_barrier_wait -1
	global_inv scope:SCOPE_SE
	v_mul_f32_e32 v102, v18, v24
	v_mul_f32_e32 v104, v15, v26
	;; [unrolled: 1-line block ×3, first 2 shown]
	v_dual_mul_f32 v108, v87, v30 :: v_dual_mul_f32 v107, v70, v28
	v_mul_f32_e32 v110, v89, v24
	v_dual_mul_f32 v24, v73, v24 :: v_dual_mul_f32 v111, v16, v26
	s_delay_alu instid0(VALU_DEP_4)
	v_fmac_f32_e32 v106, v70, v27
	v_mul_f32_e32 v26, v48, v26
	v_mul_f32_e32 v112, v91, v28
	;; [unrolled: 1-line block ×3, first 2 shown]
	v_dual_fmac_f32 v104, v47, v25 :: v_dual_mul_f32 v47, v88, v30
	v_mul_f32_e32 v30, v72, v30
	s_delay_alu instid0(VALU_DEP_4)
	v_dual_fmac_f32 v112, v75, v27 :: v_dual_fmac_f32 v111, v48, v25
	v_fma_f32 v48, v15, v25, -v105
	v_fma_f32 v105, v16, v25, -v26
	v_mul_f32_e32 v113, v90, v32
	v_dual_mul_f32 v15, v74, v32 :: v_dual_fmac_f32 v102, v8, v23
	v_fma_f32 v32, v18, v23, -v103
	v_fmac_f32_e32 v110, v73, v23
	v_fma_f32 v73, v89, v23, -v24
	v_mul_f32_e32 v89, v93, v34
	v_mul_f32_e32 v8, v77, v34
	;; [unrolled: 1-line block ×4, first 2 shown]
	v_fmac_f32_e32 v108, v71, v29
	v_dual_fmac_f32 v47, v72, v29 :: v_dual_mul_f32 v36, v95, v38
	v_dual_mul_f32 v23, v79, v38 :: v_dual_mul_f32 v24, v81, v40
	v_fma_f32 v38, v87, v29, -v109
	v_fma_f32 v29, v88, v29, -v30
	v_mul_f32_e32 v30, v97, v40
	v_fma_f32 v40, v86, v27, -v107
	v_fma_f32 v27, v91, v27, -v28
	v_mul_f32_e32 v28, v94, v42
	v_dual_mul_f32 v25, v78, v42 :: v_dual_mul_f32 v42, v99, v44
	v_mul_f32_e32 v44, v83, v44
	v_mul_f32_e32 v70, v96, v46
	v_dual_mul_f32 v46, v80, v46 :: v_dual_fmac_f32 v113, v74, v31
	v_fma_f32 v31, v90, v31, -v15
	v_fmac_f32_e32 v34, v76, v35
	v_fmac_f32_e32 v42, v83, v43
	v_fma_f32 v43, v99, v43, -v44
	v_fmac_f32_e32 v70, v80, v45
	v_fma_f32 v44, v96, v45, -v46
	v_add_f32_e32 v45, v9, v102
	v_fma_f32 v35, v92, v35, -v16
	v_fmac_f32_e32 v36, v79, v37
	v_fmac_f32_e32 v30, v81, v39
	v_fma_f32 v39, v97, v39, -v24
	v_fmac_f32_e32 v28, v78, v41
	v_fma_f32 v41, v94, v41, -v25
	v_dual_sub_f32 v72, v32, v48 :: v_dual_add_f32 v83, v110, v47
	v_dual_add_f32 v46, v104, v106 :: v_dual_sub_f32 v79, v73, v29
	v_sub_f32_e32 v74, v38, v40
	v_lshl_add_u32 v3, v3, 2, 0
	v_fmac_f32_e32 v89, v77, v33
	v_fma_f32 v33, v93, v33, -v8
	v_add_f32_e32 v93, v73, v29
	v_dual_add_f32 v77, v10, v110 :: v_dual_sub_f32 v80, v105, v27
	v_fma_f32 v46, -0.5, v46, v9
	v_add_f32_e32 v75, v32, v38
	v_sub_f32_e32 v71, v104, v106
	v_add_f32_e32 v87, v105, v27
	v_add_f32_e32 v45, v45, v104
	v_dual_sub_f32 v90, v111, v112 :: v_dual_sub_f32 v91, v73, v105
	v_sub_f32_e32 v81, v110, v111
	s_delay_alu instid0(VALU_DEP_3) | instskip(NEXT) | instid1(VALU_DEP_1)
	v_add_f32_e32 v45, v45, v106
	v_dual_add_f32 v45, v45, v108 :: v_dual_mul_f32 v18, v98, v62
	v_dual_mul_f32 v15, v100, v66 :: v_dual_mul_f32 v26, v101, v68
	v_mul_f32_e32 v62, v82, v62
	v_mul_f32_e32 v8, v85, v64
	s_delay_alu instid0(VALU_DEP_3)
	v_dual_mul_f32 v64, v69, v64 :: v_dual_fmac_f32 v15, v84, v65
	v_mul_f32_e32 v66, v84, v66
	v_mul_f32_e32 v68, v49, v68
	v_sub_f32_e32 v84, v111, v110
	v_fma_f32 v37, v95, v37, -v23
	v_fma_f32 v23, v98, v61, -v62
	v_fmac_f32_e32 v8, v69, v63
	v_fma_f32 v24, v85, v63, -v64
	v_dual_fmac_f32 v26, v49, v67 :: v_dual_add_f32 v95, v11, v113
	v_sub_f32_e32 v49, v32, v38
	v_fma_f32 v16, v101, v67, -v68
	v_dual_sub_f32 v62, v102, v104 :: v_dual_sub_f32 v85, v112, v47
	v_sub_f32_e32 v63, v108, v106
	v_add_f32_e32 v67, v21, v32
	v_fma_f32 v25, v100, v65, -v66
	v_dual_sub_f32 v65, v104, v102 :: v_dual_sub_f32 v66, v106, v108
	v_dual_add_f32 v78, v111, v112 :: v_dual_sub_f32 v99, v113, v89
	v_dual_fmac_f32 v18, v82, v61 :: v_dual_sub_f32 v61, v48, v40
	v_add_f32_e32 v68, v48, v40
	v_sub_f32_e32 v32, v48, v32
	v_sub_f32_e32 v82, v47, v112
	v_add_f32_e32 v48, v67, v48
	v_fma_f32 v67, -0.5, v78, v10
	v_fmac_f32_e32 v10, -0.5, v83
	v_dual_add_f32 v62, v62, v63 :: v_dual_add_f32 v63, v65, v66
	v_fma_f32 v66, -0.5, v75, v21
	v_add_f32_e32 v64, v102, v108
	v_dual_sub_f32 v69, v102, v108 :: v_dual_sub_f32 v76, v40, v38
	v_dual_sub_f32 v97, v31, v37 :: v_dual_sub_f32 v98, v33, v35
	s_delay_alu instid0(VALU_DEP_4)
	v_fmamk_f32 v83, v71, 0xbf737871, v66
	v_fmac_f32_e32 v66, 0x3f737871, v71
	v_add_f32_e32 v86, v22, v73
	v_sub_f32_e32 v73, v105, v73
	v_fma_f32 v9, -0.5, v64, v9
	v_add_f32_e32 v96, v89, v34
	v_fma_f32 v64, -0.5, v68, v21
	v_add_f32_e32 v21, v32, v76
	v_fmac_f32_e32 v83, 0x3f167918, v69
	v_fmac_f32_e32 v66, 0xbf167918, v69
	v_dual_sub_f32 v94, v27, v29 :: v_dual_add_f32 v65, v72, v74
	v_add_f32_e32 v74, v86, v105
	v_add_f32_e32 v68, v81, v82
	v_fmamk_f32 v81, v49, 0xbf737871, v46
	v_fmac_f32_e32 v46, 0x3f737871, v49
	v_fmac_f32_e32 v83, 0x3e9e377a, v21
	v_dual_fmac_f32 v66, 0x3e9e377a, v21 :: v_dual_sub_f32 v21, v36, v34
	v_fmamk_f32 v82, v61, 0x3f737871, v9
	v_fmac_f32_e32 v9, 0xbf737871, v61
	v_fma_f32 v78, -0.5, v96, v11
	v_add_f32_e32 v72, v84, v85
	v_fmamk_f32 v84, v79, 0xbf737871, v67
	v_fmac_f32_e32 v67, 0x3f737871, v79
	v_sub_f32_e32 v92, v29, v27
	v_dual_add_f32 v40, v48, v40 :: v_dual_fmac_f32 v9, 0x3f167918, v49
	v_dual_sub_f32 v88, v110, v47 :: v_dual_add_f32 v73, v73, v94
	s_delay_alu instid0(VALU_DEP_4)
	v_fmac_f32_e32 v67, 0x3f167918, v80
	v_add_f32_e32 v27, v74, v27
	v_fma_f32 v75, -0.5, v87, v22
	v_dual_add_f32 v32, v77, v111 :: v_dual_add_f32 v77, v95, v89
	v_dual_add_f32 v76, v91, v92 :: v_dual_fmac_f32 v81, 0xbf167918, v61
	v_fmamk_f32 v85, v80, 0x3f737871, v10
	v_dual_add_f32 v38, v40, v38 :: v_dual_fmac_f32 v9, 0x3e9e377a, v63
	s_delay_alu instid0(VALU_DEP_3) | instskip(SKIP_1) | instid1(VALU_DEP_4)
	v_dual_add_f32 v40, v27, v29 :: v_dual_fmac_f32 v81, 0x3e9e377a, v62
	v_dual_add_f32 v27, v113, v36 :: v_dual_fmac_f32 v22, -0.5, v93
	v_fmac_f32_e32 v85, 0xbf167918, v79
	v_fmamk_f32 v74, v88, 0x3f737871, v75
	v_fmac_f32_e32 v75, 0xbf737871, v88
	v_dual_add_f32 v32, v32, v112 :: v_dual_add_f32 v29, v77, v34
	v_fma_f32 v11, -0.5, v27, v11
	v_fmamk_f32 v48, v69, 0x3f737871, v64
	v_fmac_f32_e32 v64, 0xbf737871, v69
	v_fmac_f32_e32 v10, 0xbf737871, v80
	v_fmamk_f32 v86, v90, 0xbf737871, v22
	v_fmamk_f32 v87, v97, 0xbf737871, v78
	v_fmac_f32_e32 v46, 0x3f167918, v61
	v_dual_fmac_f32 v75, 0xbf167918, v90 :: v_dual_add_f32 v32, v32, v47
	v_add_f32_e32 v21, v99, v21
	s_delay_alu instid0(VALU_DEP_4)
	v_dual_fmac_f32 v82, 0xbf167918, v49 :: v_dual_fmac_f32 v87, 0xbf167918, v98
	v_add_f32_e32 v27, v29, v36
	v_fmamk_f32 v29, v98, 0x3f737871, v11
	v_sub_f32_e32 v47, v89, v113
	v_sub_f32_e32 v49, v34, v36
	v_add_f32_e32 v61, v19, v31
	v_dual_fmac_f32 v11, 0xbf737871, v98 :: v_dual_sub_f32 v36, v113, v36
	v_fmac_f32_e32 v78, 0x3f737871, v97
	s_delay_alu instid0(VALU_DEP_4) | instskip(NEXT) | instid1(VALU_DEP_4)
	v_dual_fmac_f32 v22, 0x3f737871, v90 :: v_dual_add_f32 v47, v47, v49
	v_dual_fmac_f32 v48, 0x3f167918, v71 :: v_dual_add_f32 v49, v61, v33
	s_delay_alu instid0(VALU_DEP_4) | instskip(NEXT) | instid1(VALU_DEP_4)
	v_dual_fmac_f32 v10, 0x3f167918, v79 :: v_dual_fmac_f32 v11, 0x3f167918, v97
	v_fmac_f32_e32 v78, 0x3f167918, v98
	v_fmac_f32_e32 v87, 0x3e9e377a, v21
	v_dual_fmac_f32 v64, 0xbf167918, v71 :: v_dual_fmac_f32 v29, 0xbf167918, v97
	s_delay_alu instid0(VALU_DEP_4) | instskip(NEXT) | instid1(VALU_DEP_4)
	v_fmac_f32_e32 v10, 0x3e9e377a, v72
	v_dual_fmac_f32 v78, 0x3e9e377a, v21 :: v_dual_add_f32 v21, v49, v35
	v_dual_fmac_f32 v46, 0x3e9e377a, v62 :: v_dual_fmac_f32 v67, 0x3e9e377a, v68
	v_add_f32_e32 v62, v33, v35
	v_sub_f32_e32 v34, v89, v34
	v_fmac_f32_e32 v84, 0xbf167918, v80
	v_dual_fmac_f32 v82, 0x3e9e377a, v63 :: v_dual_fmac_f32 v85, 0x3e9e377a, v72
	s_delay_alu instid0(VALU_DEP_4)
	v_fma_f32 v61, -0.5, v62, v19
	v_add_f32_e32 v62, v31, v37
	v_dual_fmac_f32 v48, 0x3e9e377a, v65 :: v_dual_fmac_f32 v75, 0x3e9e377a, v76
	v_dual_fmac_f32 v64, 0x3e9e377a, v65 :: v_dual_fmac_f32 v29, 0x3e9e377a, v47
	v_fmac_f32_e32 v22, 0xbf167918, v88
	v_fmamk_f32 v49, v36, 0x3f737871, v61
	v_sub_f32_e32 v63, v31, v33
	v_dual_sub_f32 v65, v37, v35 :: v_dual_fmac_f32 v74, 0x3f167918, v90
	v_fmac_f32_e32 v11, 0x3e9e377a, v47
	v_fma_f32 v47, -0.5, v62, v19
	v_fmac_f32_e32 v61, 0xbf737871, v36
	s_delay_alu instid0(VALU_DEP_4)
	v_dual_add_f32 v19, v63, v65 :: v_dual_fmac_f32 v74, 0x3e9e377a, v76
	v_add_f32_e32 v62, v21, v37
	v_sub_f32_e32 v21, v33, v31
	v_sub_f32_e32 v31, v35, v37
	v_dual_fmac_f32 v22, 0x3e9e377a, v73 :: v_dual_add_f32 v33, v28, v42
	v_sub_f32_e32 v35, v39, v44
	v_fmamk_f32 v63, v34, 0xbf737871, v47
	v_fmac_f32_e32 v61, 0xbf167918, v34
	v_dual_fmac_f32 v86, 0x3f167918, v88 :: v_dual_fmac_f32 v49, 0x3f167918, v34
	v_fmac_f32_e32 v84, 0x3e9e377a, v68
	s_delay_alu instid0(VALU_DEP_4)
	v_fmac_f32_e32 v63, 0x3f167918, v36
	v_add_f32_e32 v21, v21, v31
	v_add_f32_e32 v31, v12, v30
	v_fma_f32 v33, -0.5, v33, v12
	v_dual_fmac_f32 v61, 0x3e9e377a, v19 :: v_dual_add_f32 v68, v30, v70
	v_sub_f32_e32 v37, v30, v28
	v_sub_f32_e32 v65, v70, v42
	v_fmac_f32_e32 v47, 0x3f737871, v34
	v_dual_fmac_f32 v86, 0x3e9e377a, v73 :: v_dual_fmac_f32 v49, 0x3e9e377a, v19
	v_dual_fmac_f32 v63, 0x3e9e377a, v21 :: v_dual_fmac_f32 v12, -0.5, v68
	v_dual_sub_f32 v34, v41, v43 :: v_dual_add_f32 v19, v31, v28
	v_dual_add_f32 v68, v20, v39 :: v_dual_fmamk_f32 v31, v35, 0xbf737871, v33
	v_fmac_f32_e32 v47, 0xbf167918, v36
	v_fmac_f32_e32 v33, 0x3f737871, v35
	ds_store_2addr_b32 v51, v45, v81 offset1:55
	v_lshl_add_u32 v45, v13, 2, 0
	ds_store_2addr_b32 v53, v46, v32 offset0:92 offset1:147
	v_fmac_f32_e32 v47, 0x3e9e377a, v21
	v_fmamk_f32 v21, v34, 0x3f737871, v12
	v_fmac_f32_e32 v33, 0x3f167918, v34
	v_fmac_f32_e32 v12, 0xbf737871, v34
	v_dual_fmac_f32 v31, 0xbf167918, v34 :: v_dual_add_f32 v34, v68, v41
	v_dual_add_f32 v19, v19, v42 :: v_dual_sub_f32 v68, v44, v43
	s_delay_alu instid0(VALU_DEP_3) | instskip(SKIP_1) | instid1(VALU_DEP_3)
	v_fmac_f32_e32 v12, 0x3f167918, v35
	v_add_f32_e32 v36, v37, v65
	v_dual_add_f32 v34, v34, v43 :: v_dual_add_f32 v19, v19, v70
	v_sub_f32_e32 v37, v28, v30
	v_sub_f32_e32 v28, v28, v42
	v_dual_sub_f32 v65, v42, v70 :: v_dual_sub_f32 v42, v39, v41
	v_dual_add_f32 v69, v41, v43 :: v_dual_sub_f32 v30, v30, v70
	v_fmac_f32_e32 v33, 0x3e9e377a, v36
	s_delay_alu instid0(VALU_DEP_3) | instskip(SKIP_1) | instid1(VALU_DEP_4)
	v_add_f32_e32 v37, v37, v65
	v_fmac_f32_e32 v31, 0x3e9e377a, v36
	v_fma_f32 v65, -0.5, v69, v20
	v_dual_add_f32 v36, v39, v44 :: v_dual_sub_f32 v39, v41, v39
	v_sub_f32_e32 v41, v43, v44
	v_sub_f32_e32 v43, v18, v8
	v_lshl_add_u32 v46, v14, 2, 0
	s_delay_alu instid0(VALU_DEP_4)
	v_fmac_f32_e32 v20, -0.5, v36
	v_add_f32_e32 v36, v34, v44
	v_add_f32_e32 v34, v42, v68
	;; [unrolled: 1-line block ×3, first 2 shown]
	v_fmac_f32_e32 v21, 0xbf167918, v35
	v_fmamk_f32 v35, v30, 0x3f737871, v65
	v_dual_fmac_f32 v65, 0xbf737871, v30 :: v_dual_sub_f32 v44, v26, v15
	v_dual_add_f32 v68, v18, v26 :: v_dual_add_f32 v39, v39, v41
	s_delay_alu instid0(VALU_DEP_3)
	v_fmac_f32_e32 v35, 0x3f167918, v28
	v_fma_f32 v41, -0.5, v42, v7
	v_dual_sub_f32 v42, v23, v16 :: v_dual_fmac_f32 v21, 0x3e9e377a, v37
	v_fmac_f32_e32 v12, 0x3e9e377a, v37
	v_fmamk_f32 v37, v28, 0xbf737871, v20
	v_fmac_f32_e32 v20, 0x3f737871, v28
	v_dual_add_f32 v43, v43, v44 :: v_dual_sub_f32 v44, v8, v18
	v_add_nc_u32_e32 v69, 0x800, v3
	s_delay_alu instid0(VALU_DEP_4) | instskip(NEXT) | instid1(VALU_DEP_4)
	v_fmac_f32_e32 v37, 0x3f167918, v30
	v_fmac_f32_e32 v20, 0xbf167918, v30
	v_fmamk_f32 v30, v42, 0xbf737871, v41
	v_dual_fmac_f32 v65, 0xbf167918, v28 :: v_dual_add_f32 v28, v7, v18
	v_fmac_f32_e32 v41, 0x3f737871, v42
	v_dual_fmac_f32 v7, -0.5, v68 :: v_dual_sub_f32 v68, v15, v26
	v_sub_f32_e32 v18, v18, v26
	s_delay_alu instid0(VALU_DEP_4)
	v_dual_add_f32 v28, v28, v8 :: v_dual_fmac_f32 v65, 0x3e9e377a, v34
	v_sub_f32_e32 v8, v8, v15
	v_add_nc_u32_e32 v70, 0xc00, v45
	ds_store_2addr_b32 v54, v10, v67 offset0:184 offset1:239
	v_dual_add_f32 v28, v28, v15 :: v_dual_add_nc_u32 v67, 0x1000, v46
	ds_store_2addr_b32 v51, v82, v9 offset0:110 offset1:165
	ds_store_2addr_b32 v54, v84, v85 offset0:74 offset1:129
	v_add_f32_e32 v28, v28, v26
	v_dual_fmac_f32 v35, 0x3e9e377a, v34 :: v_dual_fmac_f32 v20, 0x3e9e377a, v39
	v_sub_f32_e32 v34, v24, v25
	v_add_f32_e32 v26, v44, v68
	v_dual_add_f32 v44, v23, v16 :: v_dual_fmac_f32 v37, 0x3e9e377a, v39
	s_delay_alu instid0(VALU_DEP_3) | instskip(SKIP_3) | instid1(VALU_DEP_4)
	v_fmac_f32_e32 v30, 0xbf167918, v34
	v_fmac_f32_e32 v41, 0x3f167918, v34
	v_fmamk_f32 v39, v34, 0x3f737871, v7
	v_dual_fmac_f32 v7, 0xbf737871, v34 :: v_dual_add_f32 v34, v17, v23
	v_fmac_f32_e32 v30, 0x3e9e377a, v43
	s_delay_alu instid0(VALU_DEP_4) | instskip(NEXT) | instid1(VALU_DEP_3)
	v_fmac_f32_e32 v41, 0x3e9e377a, v43
	v_dual_add_f32 v43, v24, v25 :: v_dual_add_f32 v34, v34, v24
	s_delay_alu instid0(VALU_DEP_1) | instskip(SKIP_1) | instid1(VALU_DEP_3)
	v_fma_f32 v43, -0.5, v43, v17
	v_fmac_f32_e32 v17, -0.5, v44
	v_add_f32_e32 v15, v34, v25
	v_dual_sub_f32 v34, v16, v25 :: v_dual_fmac_f32 v39, 0xbf167918, v42
	s_delay_alu instid0(VALU_DEP_3) | instskip(NEXT) | instid1(VALU_DEP_3)
	v_fmamk_f32 v44, v8, 0xbf737871, v17
	v_dual_fmac_f32 v7, 0x3f167918, v42 :: v_dual_add_f32 v68, v15, v16
	v_fmamk_f32 v42, v18, 0x3f737871, v43
	s_delay_alu instid0(VALU_DEP_4)
	v_fmac_f32_e32 v39, 0x3e9e377a, v26
	v_fmac_f32_e32 v43, 0xbf737871, v18
	;; [unrolled: 1-line block ×3, first 2 shown]
	v_dual_fmac_f32 v7, 0x3e9e377a, v26 :: v_dual_sub_f32 v26, v23, v24
	v_dual_sub_f32 v23, v24, v23 :: v_dual_sub_f32 v24, v25, v16
	v_fmac_f32_e32 v17, 0x3f737871, v8
	s_delay_alu instid0(VALU_DEP_3) | instskip(SKIP_1) | instid1(VALU_DEP_3)
	v_dual_fmac_f32 v42, 0x3f167918, v8 :: v_dual_add_f32 v25, v26, v34
	v_fmac_f32_e32 v43, 0xbf167918, v8
	v_dual_add_f32 v8, v23, v24 :: v_dual_fmac_f32 v17, 0xbf167918, v18
	s_delay_alu instid0(VALU_DEP_3) | instskip(NEXT) | instid1(VALU_DEP_2)
	v_fmac_f32_e32 v42, 0x3e9e377a, v25
	v_dual_fmac_f32 v43, 0x3e9e377a, v25 :: v_dual_fmac_f32 v44, 0x3e9e377a, v8
	s_delay_alu instid0(VALU_DEP_3)
	v_fmac_f32_e32 v17, 0x3e9e377a, v8
	ds_store_2addr_b32 v69, v27, v87 offset0:38 offset1:93
	ds_store_2addr_b32 v69, v29, v11 offset0:148 offset1:203
	;; [unrolled: 1-line block ×6, first 2 shown]
	ds_store_b32 v3, v78 offset:3080
	ds_store_b32 v45, v33 offset:4180
	;; [unrolled: 1-line block ×3, first 2 shown]
	global_wb scope:SCOPE_SE
	s_wait_dscnt 0x0
	s_barrier_signal -1
	s_barrier_wait -1
	global_inv scope:SCOPE_SE
	ds_load_2addr_b32 v[7:8], v51 offset1:55
	ds_load_2addr_b32 v[27:28], v53 offset0:92 offset1:147
	ds_load_2addr_b32 v[15:16], v55 offset0:38 offset1:93
	;; [unrolled: 1-line block ×11, first 2 shown]
	ds_load_b32 v21, v51 offset:5280
	global_wb scope:SCOPE_SE
	s_wait_dscnt 0x0
	s_barrier_signal -1
	s_barrier_wait -1
	global_inv scope:SCOPE_SE
	ds_store_2addr_b32 v51, v38, v48 offset1:55
	ds_store_2addr_b32 v51, v83, v66 offset0:110 offset1:165
	ds_store_2addr_b32 v53, v64, v40 offset0:92 offset1:147
	;; [unrolled: 1-line block ×10, first 2 shown]
	ds_store_b32 v3, v61 offset:3080
	ds_store_b32 v45, v65 offset:4180
	;; [unrolled: 1-line block ×3, first 2 shown]
	global_wb scope:SCOPE_SE
	s_wait_dscnt 0x0
	s_barrier_signal -1
	s_barrier_wait -1
	global_inv scope:SCOPE_SE
	s_and_saveexec_b32 s0, vcc_lo
	s_cbranch_execz .LBB0_19
; %bb.18:
	s_clause 0x1
	global_load_b128 v[35:38], v[5:6], off offset:2112
	global_load_b128 v[39:42], v[5:6], off offset:2128
	v_lshlrev_b32_e32 v3, 2, v50
	v_add_nc_u32_e32 v17, 0x1000, v51
	v_add_nc_u32_e32 v20, 0x800, v51
	;; [unrolled: 1-line block ×4, first 2 shown]
	v_lshlrev_b64_e32 v[5:6], 3, v[3:4]
	v_lshlrev_b32_e32 v3, 2, v60
	s_delay_alu instid0(VALU_DEP_2) | instskip(SKIP_1) | instid1(VALU_DEP_3)
	v_add_co_u32 v5, vcc_lo, s4, v5
	s_wait_alu 0xfffd
	v_add_co_ci_u32_e32 v6, vcc_lo, s5, v6, vcc_lo
	s_clause 0x1
	global_load_b128 v[43:46], v[5:6], off offset:2112
	global_load_b128 v[53:56], v[5:6], off offset:2128
	v_lshlrev_b64_e32 v[5:6], 3, v[3:4]
	v_lshlrev_b32_e32 v3, 2, v52
	s_delay_alu instid0(VALU_DEP_2) | instskip(SKIP_1) | instid1(VALU_DEP_3)
	v_add_co_u32 v5, vcc_lo, s4, v5
	s_wait_alu 0xfffd
	v_add_co_ci_u32_e32 v6, vcc_lo, s5, v6, vcc_lo
	s_clause 0x1
	global_load_b128 v[59:62], v[5:6], off offset:2112
	global_load_b128 v[63:66], v[5:6], off offset:2128
	;; [unrolled: 9-line block ×3, first 2 shown]
	v_lshlrev_b64_e32 v[5:6], 3, v[3:4]
	v_add_nc_u32_e32 v3, 0x200, v51
	s_delay_alu instid0(VALU_DEP_2) | instskip(SKIP_1) | instid1(VALU_DEP_3)
	v_add_co_u32 v5, vcc_lo, s4, v5
	s_wait_alu 0xfffd
	v_add_co_ci_u32_e32 v6, vcc_lo, s5, v6, vcc_lo
	s_clause 0x1
	global_load_b128 v[75:78], v[5:6], off offset:2128
	global_load_b128 v[79:82], v[5:6], off offset:2112
	ds_load_2addr_b32 v[5:6], v3 offset0:92 offset1:147
	ds_load_2addr_b32 v[47:48], v17 offset0:76 offset1:131
	;; [unrolled: 1-line block ×4, first 2 shown]
	v_add_co_u32 v0, vcc_lo, s8, v0
	s_wait_alu 0xfffd
	v_add_co_ci_u32_e32 v1, vcc_lo, s9, v1, vcc_lo
	s_wait_loadcnt_dscnt 0x802
	v_dual_mul_f32 v100, v6, v36 :: v_dual_mul_f32 v101, v47, v42
	s_wait_dscnt 0x1
	v_mul_f32_e32 v102, v57, v38
	s_delay_alu instid0(VALU_DEP_2) | instskip(NEXT) | instid1(VALU_DEP_2)
	v_fmac_f32_e32 v100, v28, v35
	v_fmac_f32_e32 v102, v15, v37
	;; [unrolled: 1-line block ×3, first 2 shown]
	s_delay_alu instid0(VALU_DEP_1)
	v_dual_sub_f32 v106, v100, v101 :: v_dual_add_nc_u32 v3, 0x400, v51
	ds_load_b32 v99, v51 offset:5280
	ds_load_2addr_b32 v[85:86], v51 offset0:110 offset1:165
	ds_load_2addr_b32 v[51:52], v51 offset1:55
	ds_load_2addr_b32 v[87:88], v3 offset0:184 offset1:239
	ds_load_2addr_b32 v[89:90], v49 offset0:94 offset1:149
	;; [unrolled: 1-line block ×6, first 2 shown]
	v_dual_mul_f32 v3, v28, v36 :: v_dual_mul_f32 v20, v11, v42
	v_dual_mul_f32 v17, v15, v38 :: v_dual_mul_f32 v22, v34, v40
	s_delay_alu instid0(VALU_DEP_2) | instskip(NEXT) | instid1(VALU_DEP_3)
	v_fma_f32 v3, v6, v35, -v3
	v_fma_f32 v105, v47, v41, -v20
	s_wait_dscnt 0x9
	v_mul_f32_e32 v103, v84, v40
	v_fma_f32 v104, v57, v37, -v17
	v_fma_f32 v84, v84, v39, -v22
	s_wait_loadcnt_dscnt 0x608
	v_dual_sub_f32 v17, v100, v102 :: v_dual_mul_f32 v38, v99, v56
	v_dual_add_f32 v28, v3, v105 :: v_dual_fmac_f32 v103, v34, v39
	v_sub_f32_e32 v6, v3, v104
	v_dual_sub_f32 v11, v105, v84 :: v_dual_sub_f32 v110, v104, v3
	v_sub_f32_e32 v108, v3, v105
	s_delay_alu instid0(VALU_DEP_4)
	v_add_f32_e32 v22, v102, v103
	v_add_f32_e32 v112, v100, v101
	v_dual_add_f32 v15, v104, v84 :: v_dual_sub_f32 v20, v101, v103
	v_sub_f32_e32 v107, v102, v103
	v_sub_f32_e32 v109, v104, v84
	;; [unrolled: 1-line block ×3, first 2 shown]
	v_add_f32_e32 v113, v6, v11
	s_wait_dscnt 0x6
	v_fma_f32 v35, -0.5, v15, v51
	v_add_f32_e32 v114, v17, v20
	v_fma_f32 v34, -0.5, v22, v7
	v_fma_f32 v6, -0.5, v28, v51
	s_wait_dscnt 0x5
	v_dual_mul_f32 v28, v88, v44 :: v_dual_mul_f32 v15, v33, v46
	v_dual_mul_f32 v17, v21, v56 :: v_dual_mul_f32 v20, v30, v54
	v_mul_f32_e32 v22, v83, v46
	s_delay_alu instid0(VALU_DEP_3)
	v_fmac_f32_e32 v28, v32, v43
	v_mul_f32_e32 v11, v32, v44
	s_wait_dscnt 0x4
	v_dual_mul_f32 v39, v90, v54 :: v_dual_fmac_f32 v38, v21, v55
	v_dual_fmac_f32 v22, v33, v45 :: v_dual_fmamk_f32 v37, v106, 0xbf737871, v35
	v_fmamk_f32 v36, v108, 0x3f737871, v34
	v_fma_f32 v15, v83, v45, -v15
	v_fma_f32 v33, v88, v43, -v11
	;; [unrolled: 1-line block ×4, first 2 shown]
	s_wait_loadcnt 0x5
	v_dual_mul_f32 v20, v31, v60 :: v_dual_fmac_f32 v39, v30, v53
	s_wait_loadcnt 0x4
	v_mul_f32_e32 v40, v29, v64
	s_wait_dscnt 0x2
	v_dual_mul_f32 v43, v87, v60 :: v_dual_mul_f32 v44, v94, v66
	v_dual_fmamk_f32 v11, v107, 0x3f737871, v6 :: v_dual_mul_f32 v30, v24, v66
	v_dual_mul_f32 v21, v26, v62 :: v_dual_mul_f32 v42, v89, v64
	v_dual_mul_f32 v41, v92, v62 :: v_dual_fmac_f32 v36, 0x3f167918, v109
	v_fmac_f32_e32 v37, 0xbf167918, v107
	v_fma_f32 v45, v87, v59, -v20
	v_add_f32_e32 v20, v15, v32
	v_sub_f32_e32 v46, v33, v15
	v_sub_f32_e32 v47, v17, v32
	v_dual_add_f32 v55, v22, v39 :: v_dual_fmac_f32 v44, v24, v65
	v_dual_sub_f32 v57, v15, v32 :: v_dual_add_f32 v24, v33, v17
	v_dual_fmac_f32 v43, v31, v59 :: v_dual_sub_f32 v56, v33, v17
	v_sub_f32_e32 v31, v28, v38
	v_fma_f32 v49, v92, v61, -v21
	v_dual_fmac_f32 v41, v26, v61 :: v_dual_fmac_f32 v42, v29, v63
	v_dual_sub_f32 v26, v22, v39 :: v_dual_sub_f32 v53, v28, v22
	v_dual_sub_f32 v54, v38, v39 :: v_dual_sub_f32 v29, v15, v33
	v_dual_sub_f32 v59, v32, v17 :: v_dual_add_f32 v62, v27, v28
	v_fma_f32 v60, v94, v65, -v30
	v_dual_sub_f32 v30, v22, v28 :: v_dual_sub_f32 v61, v39, v38
	v_add_f32_e32 v46, v46, v47
	v_fma_f32 v21, -0.5, v20, v5
	v_fma_f32 v20, -0.5, v55, v27
	v_dual_add_f32 v55, v28, v38 :: v_dual_sub_f32 v66, v43, v44
	s_wait_loadcnt 0x3
	v_dual_add_f32 v33, v33, v5 :: v_dual_mul_f32 v64, v91, v70
	v_fma_f32 v28, -0.5, v24, v5
	v_dual_mul_f32 v5, v19, v68 :: v_dual_mul_f32 v24, v25, v70
	s_wait_dscnt 0x1
	v_dual_mul_f32 v47, v96, v68 :: v_dual_add_f32 v22, v62, v22
	v_fma_f32 v40, v89, v63, -v40
	v_fma_f32 v27, -0.5, v55, v27
	s_wait_loadcnt 0x2
	v_mul_f32_e32 v55, v23, v74
	v_mul_f32_e32 v63, v14, v72
	v_add_f32_e32 v53, v53, v54
	s_wait_dscnt 0x0
	v_dual_mul_f32 v54, v93, v74 :: v_dual_mul_f32 v65, v98, v72
	v_fmac_f32_e32 v64, v25, v69
	v_dual_add_f32 v15, v15, v33 :: v_dual_sub_f32 v68, v45, v60
	v_dual_sub_f32 v25, v43, v41 :: v_dual_add_f32 v70, v45, v86
	v_fma_f32 v5, v96, v67, -v5
	s_wait_loadcnt 0x0
	v_dual_fmac_f32 v47, v19, v67 :: v_dual_mul_f32 v88, v16, v82
	v_sub_f32_e32 v19, v44, v42
	v_dual_add_f32 v67, v41, v42 :: v_dual_add_f32 v32, v32, v15
	v_add_f32_e32 v72, v10, v43
	v_dual_add_f32 v59, v29, v59 :: v_dual_fmac_f32 v54, v23, v73
	v_dual_add_f32 v61, v30, v61 :: v_dual_sub_f32 v62, v41, v42
	v_fmac_f32_e32 v37, 0x3e9e377a, v113
	v_dual_sub_f32 v29, v45, v49 :: v_dual_sub_f32 v74, v42, v44
	v_sub_f32_e32 v30, v60, v40
	v_fma_f32 v33, v91, v69, -v24
	v_add_f32_e32 v24, v49, v40
	v_sub_f32_e32 v69, v49, v40
	v_fma_f32 v55, v93, v73, -v55
	v_sub_f32_e32 v23, v49, v45
	v_dual_sub_f32 v73, v40, v60 :: v_dual_add_f32 v90, v29, v30
	v_dual_add_f32 v45, v45, v60 :: v_dual_fmamk_f32 v30, v26, 0x3f737871, v28
	v_fma_f32 v63, v98, v71, -v63
	v_fmac_f32_e32 v65, v14, v71
	v_dual_sub_f32 v71, v41, v43 :: v_dual_fmac_f32 v28, 0xbf737871, v26
	v_mul_f32_e32 v83, v12, v78
	v_mul_f32_e32 v89, v18, v80
	;; [unrolled: 1-line block ×3, first 2 shown]
	v_add_f32_e32 v43, v43, v44
	v_add_f32_e32 v91, v25, v19
	v_fma_f32 v14, -0.5, v67, v10
	v_dual_mul_f32 v67, v58, v82 :: v_dual_sub_f32 v82, v5, v55
	v_add_f32_e32 v19, v49, v70
	v_dual_mul_f32 v70, v97, v76 :: v_dual_add_f32 v41, v72, v41
	v_dual_mul_f32 v72, v48, v78 :: v_dual_mul_f32 v87, v13, v76
	v_add_f32_e32 v39, v22, v39
	v_fma_f32 v15, -0.5, v24, v86
	v_add_f32_e32 v71, v71, v74
	v_dual_fmamk_f32 v25, v31, 0xbf737871, v21 :: v_dual_fmac_f32 v70, v13, v75
	v_dual_fmamk_f32 v24, v56, 0x3f737871, v20 :: v_dual_add_f32 v49, v23, v73
	v_sub_f32_e32 v92, v64, v47
	v_fma_f32 v23, -0.5, v45, v86
	v_dual_fmamk_f32 v29, v57, 0xbf737871, v27 :: v_dual_fmac_f32 v72, v12, v77
	v_dual_fmac_f32 v20, 0xbf737871, v56 :: v_dual_sub_f32 v45, v5, v33
	v_fmac_f32_e32 v30, 0xbf167918, v31
	v_fmac_f32_e32 v80, v18, v79
	v_fma_f32 v22, -0.5, v43, v10
	v_fma_f32 v10, v58, v81, -v88
	v_sub_f32_e32 v58, v55, v63
	v_dual_add_f32 v73, v33, v63 :: v_dual_fmac_f32 v24, 0x3f167918, v57
	v_dual_sub_f32 v74, v47, v54 :: v_dual_fmac_f32 v27, 0x3f737871, v57
	v_dual_add_f32 v12, v38, v39 :: v_dual_fmac_f32 v67, v16, v81
	v_fmac_f32_e32 v28, 0x3f167918, v31
	v_dual_sub_f32 v78, v47, v64 :: v_dual_add_f32 v81, v64, v65
	v_fmamk_f32 v18, v69, 0xbf737871, v22
	v_sub_f32_e32 v86, v33, v63
	v_fmac_f32_e32 v21, 0x3f737871, v31
	v_fma_f32 v83, v48, v77, -v83
	v_sub_f32_e32 v48, v33, v5
	v_sub_f32_e32 v88, v63, v55
	v_dual_add_f32 v93, v47, v54 :: v_dual_fmac_f32 v22, 0x3f737871, v69
	v_dual_add_f32 v47, v9, v47 :: v_dual_sub_f32 v76, v64, v65
	v_fma_f32 v43, v95, v79, -v89
	v_dual_sub_f32 v79, v54, v65 :: v_dual_fmamk_f32 v16, v68, 0xbf737871, v14
	v_fma_f32 v87, v97, v75, -v87
	v_dual_add_f32 v89, v5, v55 :: v_dual_fmac_f32 v20, 0xbf167918, v57
	v_sub_f32_e32 v75, v65, v54
	v_dual_add_f32 v5, v5, v85 :: v_dual_fmac_f32 v14, 0x3f737871, v68
	v_fmac_f32_e32 v25, 0xbf167918, v26
	v_fmac_f32_e32 v29, 0x3f167918, v56
	;; [unrolled: 1-line block ×4, first 2 shown]
	v_add_f32_e32 v13, v17, v32
	v_dual_fmamk_f32 v17, v66, 0x3f737871, v15 :: v_dual_add_f32 v26, v40, v19
	v_dual_fmac_f32 v15, 0xbf737871, v66 :: v_dual_add_f32 v96, v70, v67
	v_add_f32_e32 v56, v45, v58
	v_fma_f32 v32, -0.5, v73, v85
	v_fma_f32 v31, -0.5, v81, v9
	v_add_f32_e32 v58, v48, v88
	v_fma_f32 v38, -0.5, v93, v9
	v_dual_add_f32 v9, v47, v64 :: v_dual_fmac_f32 v28, 0x3e9e377a, v59
	v_dual_add_f32 v93, v72, v80 :: v_dual_add_f32 v40, v41, v42
	v_fmamk_f32 v19, v62, 0x3f737871, v23
	v_dual_fmac_f32 v23, 0xbf737871, v62 :: v_dual_sub_f32 v94, v10, v87
	v_dual_add_f32 v57, v78, v79 :: v_dual_fmac_f32 v24, 0x3e9e377a, v53
	v_fma_f32 v39, -0.5, v89, v85
	v_dual_add_f32 v73, v92, v75 :: v_dual_fmac_f32 v20, 0x3e9e377a, v53
	v_dual_add_f32 v5, v33, v5 :: v_dual_fmac_f32 v30, 0x3e9e377a, v59
	;; [unrolled: 1-line block ×4, first 2 shown]
	v_sub_f32_e32 v48, v10, v43
	v_sub_f32_e32 v64, v87, v83
	v_dual_add_f32 v77, v83, v43 :: v_dual_fmac_f32 v18, 0x3f167918, v68
	v_dual_sub_f32 v78, v80, v72 :: v_dual_sub_f32 v79, v43, v10
	v_dual_fmac_f32 v22, 0xbf167918, v68 :: v_dual_sub_f32 v81, v83, v87
	v_dual_fmamk_f32 v42, v82, 0x3f737871, v31 :: v_dual_add_f32 v85, v87, v10
	v_dual_sub_f32 v92, v43, v83 :: v_dual_sub_f32 v95, v72, v70
	v_dual_fmac_f32 v25, 0x3e9e377a, v46 :: v_dual_add_f32 v10, v10, v33
	v_dual_fmac_f32 v21, 0x3e9e377a, v46 :: v_dual_fmac_f32 v16, 0x3e9e377a, v91
	v_dual_add_f32 v41, v60, v26 :: v_dual_fmac_f32 v18, 0x3e9e377a, v71
	v_fmamk_f32 v43, v74, 0xbf737871, v32
	v_fmac_f32_e32 v32, 0x3f737871, v74
	v_add_f32_e32 v26, v9, v65
	v_fma_f32 v46, -0.5, v93, v8
	v_fma_f32 v8, -0.5, v96, v8
	v_dual_sub_f32 v75, v67, v70 :: v_dual_add_f32 v40, v44, v40
	v_sub_f32_e32 v88, v67, v80
	v_sub_f32_e32 v80, v80, v67
	v_fmamk_f32 v45, v76, 0x3f737871, v39
	v_dual_fmamk_f32 v44, v86, 0xbf737871, v38 :: v_dual_fmac_f32 v39, 0xbf737871, v76
	v_dual_add_f32 v5, v63, v5 :: v_dual_fmac_f32 v22, 0x3e9e377a, v71
	v_dual_add_f32 v33, v67, v47 :: v_dual_fmac_f32 v42, 0x3f167918, v86
	v_fmac_f32_e32 v19, 0xbf167918, v66
	v_dual_add_f32 v59, v64, v48 :: v_dual_fmac_f32 v14, 0x3e9e377a, v91
	v_fma_f32 v47, -0.5, v77, v52
	v_fma_f32 v9, -0.5, v85, v52
	v_add_f32_e32 v48, v54, v26
	v_fmamk_f32 v52, v94, 0xbf737871, v46
	v_fmac_f32_e32 v23, 0x3f167918, v66
	v_fmamk_f32 v54, v92, 0x3f737871, v8
	v_fmac_f32_e32 v27, 0x3e9e377a, v61
	v_dual_fmac_f32 v17, 0x3f167918, v62 :: v_dual_fmac_f32 v32, 0x3f167918, v76
	v_dual_fmac_f32 v31, 0xbf737871, v82 :: v_dual_fmac_f32 v8, 0xbf737871, v92
	v_fmac_f32_e32 v19, 0x3e9e377a, v49
	v_dual_fmamk_f32 v53, v75, 0x3f737871, v47 :: v_dual_fmac_f32 v46, 0x3f737871, v94
	v_dual_fmac_f32 v15, 0xbf167918, v62 :: v_dual_add_f32 v62, v95, v80
	v_fmac_f32_e32 v52, 0x3f167918, v92
	v_fmac_f32_e32 v54, 0x3f167918, v94
	v_fmac_f32_e32 v23, 0x3e9e377a, v49
	v_dual_add_f32 v49, v55, v5 :: v_dual_fmac_f32 v8, 0xbf167918, v94
	v_dual_fmamk_f32 v55, v78, 0xbf737871, v9 :: v_dual_fmac_f32 v6, 0xbf737871, v107
	v_dual_sub_f32 v89, v70, v72 :: v_dual_fmac_f32 v38, 0x3f737871, v86
	v_add_f32_e32 v3, v3, v51
	v_dual_fmac_f32 v29, 0x3e9e377a, v61 :: v_dual_add_f32 v60, v81, v79
	s_delay_alu instid0(VALU_DEP_4) | instskip(NEXT) | instid1(VALU_DEP_4)
	v_fmac_f32_e32 v6, 0x3f167918, v106
	v_dual_fmac_f32 v43, 0xbf167918, v76 :: v_dual_fmac_f32 v38, 0xbf167918, v82
	v_dual_fmac_f32 v45, 0xbf167918, v74 :: v_dual_add_f32 v26, v110, v111
	v_add_f32_e32 v5, v87, v10
	v_fmac_f32_e32 v55, 0xbf167918, v75
	s_delay_alu instid0(VALU_DEP_4)
	v_fmac_f32_e32 v38, 0x3e9e377a, v73
	v_fmac_f32_e32 v11, 0xbf167918, v106
	v_add_f32_e32 v3, v104, v3
	v_fmac_f32_e32 v31, 0xbf167918, v86
	v_dual_fmac_f32 v17, 0x3e9e377a, v90 :: v_dual_fmac_f32 v42, 0x3e9e377a, v57
	v_dual_add_f32 v10, v70, v33 :: v_dual_fmac_f32 v55, 0x3e9e377a, v60
	v_fmac_f32_e32 v6, 0x3e9e377a, v26
	v_dual_fmac_f32 v11, 0x3e9e377a, v26 :: v_dual_add_f32 v26, v84, v3
	v_dual_fmac_f32 v31, 0x3e9e377a, v57 :: v_dual_fmac_f32 v8, 0x3e9e377a, v62
	v_add_f32_e32 v57, v83, v5
	v_fma_f32 v5, -0.5, v112, v7
	v_dual_add_f32 v61, v89, v88 :: v_dual_fmac_f32 v44, 0x3f167918, v82
	v_fmac_f32_e32 v43, 0x3e9e377a, v56
	v_fmac_f32_e32 v32, 0x3e9e377a, v56
	v_add_f32_e32 v56, v72, v10
	s_delay_alu instid0(VALU_DEP_4) | instskip(SKIP_4) | instid1(VALU_DEP_4)
	v_fmac_f32_e32 v52, 0x3e9e377a, v61
	v_dual_fmamk_f32 v10, v109, 0xbf737871, v5 :: v_dual_add_f32 v7, v7, v100
	v_fmac_f32_e32 v39, 0x3f167918, v74
	v_dual_fmac_f32 v47, 0xbf737871, v75 :: v_dual_fmac_f32 v34, 0xbf737871, v108
	v_mul_hi_u32 v51, 0xdca01dcb, v50
	v_dual_add_f32 v7, v7, v102 :: v_dual_fmac_f32 v46, 0xbf167918, v92
	v_fmac_f32_e32 v45, 0x3e9e377a, v58
	s_delay_alu instid0(VALU_DEP_4)
	v_dual_fmac_f32 v47, 0x3f167918, v78 :: v_dual_fmac_f32 v10, 0x3f167918, v108
	v_fmac_f32_e32 v39, 0x3e9e377a, v58
	v_dual_sub_f32 v33, v102, v100 :: v_dual_sub_f32 v58, v103, v101
	v_add_f32_e32 v7, v7, v103
	v_mov_b32_e32 v3, v4
	v_fmac_f32_e32 v9, 0x3f737871, v78
	v_fmac_f32_e32 v5, 0x3f737871, v109
	v_add_f32_e32 v33, v33, v58
	v_add_f32_e32 v58, v101, v7
	v_sub_nc_u32_e32 v7, v50, v51
	v_lshlrev_b64_e32 v[2:3], 3, v[2:3]
	v_fmac_f32_e32 v9, 0x3f167918, v75
	v_fmac_f32_e32 v35, 0x3f737871, v106
	v_dual_fmac_f32 v53, 0xbf167918, v78 :: v_dual_fmac_f32 v34, 0xbf167918, v109
	v_lshrrev_b32_e32 v7, 1, v7
	s_delay_alu instid0(VALU_DEP_4)
	v_fmac_f32_e32 v9, 0x3e9e377a, v60
	v_add_co_u32 v0, vcc_lo, v0, v2
	s_wait_alu 0xfffd
	v_add_co_ci_u32_e32 v1, vcc_lo, v1, v3, vcc_lo
	v_dual_fmac_f32 v5, 0xbf167918, v108 :: v_dual_add_nc_u32 v2, v7, v51
	v_fmac_f32_e32 v35, 0x3f167918, v107
	v_dual_fmac_f32 v53, 0x3e9e377a, v59 :: v_dual_fmac_f32 v36, 0x3e9e377a, v114
	s_delay_alu instid0(VALU_DEP_3) | instskip(SKIP_2) | instid1(VALU_DEP_3)
	v_lshrrev_b32_e32 v2, 8, v2
	v_dual_fmac_f32 v47, 0x3e9e377a, v59 :: v_dual_fmac_f32 v34, 0x3e9e377a, v114
	v_dual_fmac_f32 v10, 0x3e9e377a, v33 :: v_dual_add_f32 v59, v105, v26
	v_mul_u32_u24_e32 v3, 0x44c, v2
	v_fmac_f32_e32 v5, 0x3e9e377a, v33
	v_fmac_f32_e32 v35, 0x3e9e377a, v113
	;; [unrolled: 1-line block ×4, first 2 shown]
	v_lshlrev_b64_e32 v[2:3], 3, v[3:4]
	v_dual_fmac_f32 v15, 0x3e9e377a, v90 :: v_dual_fmac_f32 v44, 0x3e9e377a, v73
	s_clause 0xb
	global_store_b64 v[0:1], v[58:59], off
	global_store_b64 v[0:1], v[56:57], off offset:440
	global_store_b64 v[0:1], v[48:49], off offset:880
	global_store_b64 v[0:1], v[40:41], off offset:1320
	global_store_b64 v[0:1], v[34:35], off offset:2200
	global_store_b64 v[0:1], v[8:9], off offset:2640
	global_store_b64 v[0:1], v[31:32], off offset:3080
	global_store_b64 v[0:1], v[16:17], off offset:3520
	global_store_b64 v[0:1], v[5:6], off offset:4400
	global_store_b64 v[0:1], v[46:47], off offset:4840
	global_store_b64 v[0:1], v[38:39], off offset:5280
	global_store_b64 v[0:1], v[22:23], off offset:5720
	v_add_co_u32 v2, vcc_lo, v0, v2
	s_wait_alu 0xfffd
	v_add_co_ci_u32_e32 v3, vcc_lo, v1, v3, vcc_lo
	s_clause 0xc
	global_store_b64 v[0:1], v[10:11], off offset:6600
	global_store_b64 v[0:1], v[52:53], off offset:7040
	;; [unrolled: 1-line block ×13, first 2 shown]
.LBB0_19:
	s_nop 0
	s_sendmsg sendmsg(MSG_DEALLOC_VGPRS)
	s_endpgm
	.section	.rodata,"a",@progbits
	.p2align	6, 0x0
	.amdhsa_kernel fft_rtc_back_len1375_factors_11_5_5_5_wgs_55_tpt_55_halfLds_sp_ip_CI_unitstride_sbrr_dirReg
		.amdhsa_group_segment_fixed_size 0
		.amdhsa_private_segment_fixed_size 0
		.amdhsa_kernarg_size 88
		.amdhsa_user_sgpr_count 2
		.amdhsa_user_sgpr_dispatch_ptr 0
		.amdhsa_user_sgpr_queue_ptr 0
		.amdhsa_user_sgpr_kernarg_segment_ptr 1
		.amdhsa_user_sgpr_dispatch_id 0
		.amdhsa_user_sgpr_private_segment_size 0
		.amdhsa_wavefront_size32 1
		.amdhsa_uses_dynamic_stack 0
		.amdhsa_enable_private_segment 0
		.amdhsa_system_sgpr_workgroup_id_x 1
		.amdhsa_system_sgpr_workgroup_id_y 0
		.amdhsa_system_sgpr_workgroup_id_z 0
		.amdhsa_system_sgpr_workgroup_info 0
		.amdhsa_system_vgpr_workitem_id 0
		.amdhsa_next_free_vgpr 119
		.amdhsa_next_free_sgpr 32
		.amdhsa_reserve_vcc 1
		.amdhsa_float_round_mode_32 0
		.amdhsa_float_round_mode_16_64 0
		.amdhsa_float_denorm_mode_32 3
		.amdhsa_float_denorm_mode_16_64 3
		.amdhsa_fp16_overflow 0
		.amdhsa_workgroup_processor_mode 1
		.amdhsa_memory_ordered 1
		.amdhsa_forward_progress 0
		.amdhsa_round_robin_scheduling 0
		.amdhsa_exception_fp_ieee_invalid_op 0
		.amdhsa_exception_fp_denorm_src 0
		.amdhsa_exception_fp_ieee_div_zero 0
		.amdhsa_exception_fp_ieee_overflow 0
		.amdhsa_exception_fp_ieee_underflow 0
		.amdhsa_exception_fp_ieee_inexact 0
		.amdhsa_exception_int_div_zero 0
	.end_amdhsa_kernel
	.text
.Lfunc_end0:
	.size	fft_rtc_back_len1375_factors_11_5_5_5_wgs_55_tpt_55_halfLds_sp_ip_CI_unitstride_sbrr_dirReg, .Lfunc_end0-fft_rtc_back_len1375_factors_11_5_5_5_wgs_55_tpt_55_halfLds_sp_ip_CI_unitstride_sbrr_dirReg
                                        ; -- End function
	.section	.AMDGPU.csdata,"",@progbits
; Kernel info:
; codeLenInByte = 18328
; NumSgprs: 34
; NumVgprs: 119
; ScratchSize: 0
; MemoryBound: 0
; FloatMode: 240
; IeeeMode: 1
; LDSByteSize: 0 bytes/workgroup (compile time only)
; SGPRBlocks: 4
; VGPRBlocks: 14
; NumSGPRsForWavesPerEU: 34
; NumVGPRsForWavesPerEU: 119
; Occupancy: 12
; WaveLimiterHint : 1
; COMPUTE_PGM_RSRC2:SCRATCH_EN: 0
; COMPUTE_PGM_RSRC2:USER_SGPR: 2
; COMPUTE_PGM_RSRC2:TRAP_HANDLER: 0
; COMPUTE_PGM_RSRC2:TGID_X_EN: 1
; COMPUTE_PGM_RSRC2:TGID_Y_EN: 0
; COMPUTE_PGM_RSRC2:TGID_Z_EN: 0
; COMPUTE_PGM_RSRC2:TIDIG_COMP_CNT: 0
	.text
	.p2alignl 7, 3214868480
	.fill 96, 4, 3214868480
	.type	__hip_cuid_cf31137880520d15,@object ; @__hip_cuid_cf31137880520d15
	.section	.bss,"aw",@nobits
	.globl	__hip_cuid_cf31137880520d15
__hip_cuid_cf31137880520d15:
	.byte	0                               ; 0x0
	.size	__hip_cuid_cf31137880520d15, 1

	.ident	"AMD clang version 19.0.0git (https://github.com/RadeonOpenCompute/llvm-project roc-6.4.0 25133 c7fe45cf4b819c5991fe208aaa96edf142730f1d)"
	.section	".note.GNU-stack","",@progbits
	.addrsig
	.addrsig_sym __hip_cuid_cf31137880520d15
	.amdgpu_metadata
---
amdhsa.kernels:
  - .args:
      - .actual_access:  read_only
        .address_space:  global
        .offset:         0
        .size:           8
        .value_kind:     global_buffer
      - .offset:         8
        .size:           8
        .value_kind:     by_value
      - .actual_access:  read_only
        .address_space:  global
        .offset:         16
        .size:           8
        .value_kind:     global_buffer
      - .actual_access:  read_only
        .address_space:  global
        .offset:         24
        .size:           8
        .value_kind:     global_buffer
      - .offset:         32
        .size:           8
        .value_kind:     by_value
      - .actual_access:  read_only
        .address_space:  global
        .offset:         40
        .size:           8
        .value_kind:     global_buffer
      - .actual_access:  read_only
        .address_space:  global
        .offset:         48
        .size:           8
        .value_kind:     global_buffer
      - .offset:         56
        .size:           4
        .value_kind:     by_value
      - .actual_access:  read_only
        .address_space:  global
        .offset:         64
        .size:           8
        .value_kind:     global_buffer
      - .actual_access:  read_only
        .address_space:  global
        .offset:         72
        .size:           8
        .value_kind:     global_buffer
      - .address_space:  global
        .offset:         80
        .size:           8
        .value_kind:     global_buffer
    .group_segment_fixed_size: 0
    .kernarg_segment_align: 8
    .kernarg_segment_size: 88
    .language:       OpenCL C
    .language_version:
      - 2
      - 0
    .max_flat_workgroup_size: 55
    .name:           fft_rtc_back_len1375_factors_11_5_5_5_wgs_55_tpt_55_halfLds_sp_ip_CI_unitstride_sbrr_dirReg
    .private_segment_fixed_size: 0
    .sgpr_count:     34
    .sgpr_spill_count: 0
    .symbol:         fft_rtc_back_len1375_factors_11_5_5_5_wgs_55_tpt_55_halfLds_sp_ip_CI_unitstride_sbrr_dirReg.kd
    .uniform_work_group_size: 1
    .uses_dynamic_stack: false
    .vgpr_count:     119
    .vgpr_spill_count: 0
    .wavefront_size: 32
    .workgroup_processor_mode: 1
amdhsa.target:   amdgcn-amd-amdhsa--gfx1201
amdhsa.version:
  - 1
  - 2
...

	.end_amdgpu_metadata
